;; amdgpu-corpus repo=ROCm/rocFFT kind=compiled arch=gfx90a opt=O3
	.text
	.amdgcn_target "amdgcn-amd-amdhsa--gfx90a"
	.amdhsa_code_object_version 6
	.protected	bluestein_single_back_len1377_dim1_dp_op_CI_CI ; -- Begin function bluestein_single_back_len1377_dim1_dp_op_CI_CI
	.globl	bluestein_single_back_len1377_dim1_dp_op_CI_CI
	.p2align	8
	.type	bluestein_single_back_len1377_dim1_dp_op_CI_CI,@function
bluestein_single_back_len1377_dim1_dp_op_CI_CI: ; @bluestein_single_back_len1377_dim1_dp_op_CI_CI
; %bb.0:
	s_load_dwordx4 s[12:15], s[4:5], 0x28
	s_mov_b64 s[66:67], s[2:3]
	s_mov_b64 s[64:65], s[0:1]
	v_mul_u32_u24_e32 v1, 0x506, v0
	s_add_u32 s64, s64, s7
	v_add_u32_sdwa v6, s6, v1 dst_sel:DWORD dst_unused:UNUSED_PAD src0_sel:DWORD src1_sel:WORD_1
	v_mov_b32_e32 v7, 0
	s_addc_u32 s65, s65, 0
	s_waitcnt lgkmcnt(0)
	v_cmp_gt_u64_e32 vcc, s[12:13], v[6:7]
	s_and_saveexec_b64 s[0:1], vcc
	s_cbranch_execz .LBB0_15
; %bb.1:
	s_load_dwordx4 s[8:11], s[4:5], 0x18
	s_load_dwordx2 s[6:7], s[4:5], 0x0
	v_mov_b32_e32 v2, 51
	v_mul_lo_u16_sdwa v1, v1, v2 dst_sel:DWORD dst_unused:UNUSED_PAD src0_sel:WORD_1 src1_sel:DWORD
	v_sub_u16_e32 v86, v0, v1
	s_waitcnt lgkmcnt(0)
	s_load_dwordx4 s[0:3], s[8:9], 0x0
	v_accvgpr_write_b32 a4, v6
	v_lshlrev_b32_e32 v236, 4, v86
	s_movk_i32 s12, 0x1000
	s_movk_i32 s13, 0x2000
	s_waitcnt lgkmcnt(0)
	v_mad_u64_u32 v[0:1], s[8:9], s2, v6, 0
	v_mov_b32_e32 v4, v1
	v_mad_u64_u32 v[2:3], s[8:9], s0, v86, 0
	v_mad_u64_u32 v[4:5], s[2:3], s3, v6, v[4:5]
	v_mov_b32_e32 v1, v4
	v_mov_b32_e32 v4, v3
	v_mad_u64_u32 v[4:5], s[2:3], s1, v86, v[4:5]
	v_lshlrev_b64 v[0:1], 4, v[0:1]
	v_mov_b32_e32 v3, v4
	v_mov_b32_e32 v4, s15
	v_add_co_u32_e32 v5, vcc, s14, v0
	v_addc_co_u32_e32 v6, vcc, v4, v1, vcc
	v_lshlrev_b64 v[0:1], 4, v[2:3]
	v_add_co_u32_e32 v4, vcc, v5, v0
	v_addc_co_u32_e32 v5, vcc, v6, v1, vcc
	v_mov_b32_e32 v6, s7
	v_add_co_u32_e32 v84, vcc, s6, v236
	v_addc_co_u32_e32 v85, vcc, 0, v6, vcc
	v_add_co_u32_e32 v44, vcc, s12, v84
	v_addc_co_u32_e32 v45, vcc, 0, v85, vcc
	v_add_co_u32_e32 v46, vcc, s13, v84
	s_mul_i32 s13, s1, 0x51
	s_mul_hi_u32 s14, s0, 0x51
	s_mul_i32 s12, s0, 0x51
	s_add_i32 s13, s14, s13
	v_addc_co_u32_e32 v47, vcc, 0, v85, vcc
	s_lshl_b64 s[12:13], s[12:13], 4
	global_load_dwordx4 v[0:3], v[4:5], off
	v_mov_b32_e32 v52, s13
	v_add_co_u32_e32 v4, vcc, s12, v4
	v_addc_co_u32_e32 v5, vcc, v5, v52, vcc
	global_load_dwordx4 v[88:91], v236, s[6:7]
	s_load_dwordx4 s[8:11], s[10:11], 0x0
	global_load_dwordx4 v[152:155], v236, s[6:7] offset:1296
	global_load_dwordx4 v[148:151], v236, s[6:7] offset:2592
	global_load_dwordx4 v[144:147], v236, s[6:7] offset:3888
	global_load_dwordx4 v[140:143], v[44:45], off offset:1088
	global_load_dwordx4 v[128:131], v[44:45], off offset:2384
	;; [unrolled: 1-line block ×3, first 2 shown]
	global_load_dwordx4 v[24:27], v[4:5], off
	v_add_co_u32_e32 v4, vcc, s12, v4
	v_addc_co_u32_e32 v5, vcc, v5, v52, vcc
	v_add_co_u32_e32 v6, vcc, s12, v4
	v_addc_co_u32_e32 v7, vcc, v5, v52, vcc
	global_load_dwordx4 v[28:31], v[4:5], off
	global_load_dwordx4 v[20:23], v[6:7], off
	v_add_co_u32_e32 v4, vcc, s12, v6
	v_addc_co_u32_e32 v5, vcc, v7, v52, vcc
	global_load_dwordx4 v[16:19], v[4:5], off
	v_add_co_u32_e32 v4, vcc, s12, v4
	v_addc_co_u32_e32 v5, vcc, v5, v52, vcc
	;; [unrolled: 3-line block ×3, first 2 shown]
	v_add_co_u32_e32 v32, vcc, s12, v4
	v_addc_co_u32_e32 v33, vcc, v5, v52, vcc
	v_add_co_u32_e32 v38, vcc, s12, v32
	global_load_dwordx4 v[8:11], v[4:5], off
	v_addc_co_u32_e32 v39, vcc, v33, v52, vcc
	global_load_dwordx4 v[4:7], v[32:33], off
	s_nop 0
	global_load_dwordx4 v[32:35], v[38:39], off
	global_load_dwordx4 v[132:135], v[46:47], off offset:880
	global_load_dwordx4 v[96:99], v[46:47], off offset:2176
	v_add_co_u32_e32 v38, vcc, s12, v38
	v_addc_co_u32_e32 v39, vcc, v39, v52, vcc
	global_load_dwordx4 v[40:43], v[38:39], off
	global_load_dwordx4 v[108:111], v[46:47], off offset:3472
	v_add_co_u32_e32 v38, vcc, s12, v38
	v_addc_co_u32_e32 v39, vcc, v39, v52, vcc
	s_movk_i32 s14, 0x3000
	v_add_co_u32_e32 v48, vcc, s14, v84
	v_addc_co_u32_e32 v49, vcc, 0, v85, vcc
	global_load_dwordx4 v[56:59], v[38:39], off
	v_add_co_u32_e32 v38, vcc, s12, v38
	v_addc_co_u32_e32 v39, vcc, v39, v52, vcc
	global_load_dwordx4 v[60:63], v[38:39], off
	global_load_dwordx4 v[124:127], v[48:49], off offset:672
	global_load_dwordx4 v[112:115], v[48:49], off offset:1968
	v_add_co_u32_e32 v38, vcc, s12, v38
	v_addc_co_u32_e32 v39, vcc, v39, v52, vcc
	global_load_dwordx4 v[64:67], v[38:39], off
	global_load_dwordx4 v[100:103], v[48:49], off offset:3264
	v_add_co_u32_e32 v38, vcc, s12, v38
	v_addc_co_u32_e32 v39, vcc, v39, v52, vcc
	s_movk_i32 s14, 0x4000
	v_add_co_u32_e32 v50, vcc, s14, v84
	v_addc_co_u32_e32 v51, vcc, 0, v85, vcc
	global_load_dwordx4 v[68:71], v[38:39], off
	v_add_co_u32_e32 v38, vcc, s12, v38
	v_addc_co_u32_e32 v39, vcc, v39, v52, vcc
	global_load_dwordx4 v[72:75], v[38:39], off
	global_load_dwordx4 v[136:139], v[50:51], off offset:464
	global_load_dwordx4 v[104:107], v[50:51], off offset:1760
	v_add_co_u32_e32 v38, vcc, s12, v38
	s_waitcnt vmcnt(28)
	v_mul_f64 v[36:37], v[2:3], v[90:91]
	v_addc_co_u32_e32 v39, vcc, v39, v52, vcc
	v_add_co_u32_e32 v54, vcc, s12, v38
	v_fmac_f64_e32 v[36:37], v[0:1], v[88:89]
	v_mul_f64 v[0:1], v[0:1], v[90:91]
	global_load_dwordx4 v[76:79], v[38:39], off
	global_load_dwordx4 v[116:119], v[50:51], off offset:3056
	v_addc_co_u32_e32 v55, vcc, v39, v52, vcc
	v_fma_f64 v[38:39], v[2:3], v[88:89], -v[0:1]
	s_waitcnt vmcnt(23)
	v_mul_f64 v[0:1], v[26:27], v[154:155]
	v_mul_f64 v[2:3], v[24:25], v[154:155]
	v_fmac_f64_e32 v[0:1], v[24:25], v[152:153]
	v_fma_f64 v[2:3], v[26:27], v[152:153], -v[2:3]
	ds_write_b128 v236, v[0:3] offset:1296
	s_waitcnt vmcnt(22)
	v_mul_f64 v[0:1], v[30:31], v[150:151]
	v_mul_f64 v[2:3], v[28:29], v[150:151]
	v_fmac_f64_e32 v[0:1], v[28:29], v[148:149]
	v_fma_f64 v[2:3], v[30:31], v[148:149], -v[2:3]
	ds_write_b128 v236, v[0:3] offset:2592
	;; [unrolled: 6-line block ×8, first 2 shown]
	s_waitcnt vmcnt(12)
	v_mul_f64 v[0:1], v[42:43], v[110:111]
	v_mul_f64 v[2:3], v[40:41], v[110:111]
	v_fmac_f64_e32 v[0:1], v[40:41], v[108:109]
	v_fma_f64 v[2:3], v[42:43], v[108:109], -v[2:3]
	s_movk_i32 s14, 0x5000
	ds_write_b128 v236, v[0:3] offset:11664
	s_waitcnt vmcnt(9)
	v_mul_f64 v[0:1], v[58:59], v[126:127]
	v_mul_f64 v[2:3], v[56:57], v[126:127]
	v_add_co_u32_e32 v52, vcc, s14, v84
	v_fmac_f64_e32 v[0:1], v[56:57], v[124:125]
	v_fma_f64 v[2:3], v[58:59], v[124:125], -v[2:3]
	v_accvgpr_write_b32 a33, v84            ;  Reload Reuse
	v_addc_co_u32_e32 v53, vcc, 0, v85, vcc
	ds_write_b128 v236, v[0:3] offset:12960
	s_waitcnt vmcnt(8)
	v_mul_f64 v[0:1], v[62:63], v[114:115]
	global_load_dwordx4 v[80:83], v[54:55], off
	global_load_dwordx4 v[120:123], v[52:53], off offset:256
	ds_write_b128 v236, v[36:39]
	v_fmac_f64_e32 v[0:1], v[60:61], v[112:113]
	v_mul_f64 v[2:3], v[60:61], v[114:115]
	buffer_store_dword v112, off, s[64:67], 0 offset:80 ; 4-byte Folded Spill
	s_nop 0
	buffer_store_dword v113, off, s[64:67], 0 offset:84 ; 4-byte Folded Spill
	buffer_store_dword v114, off, s[64:67], 0 offset:88 ; 4-byte Folded Spill
	;; [unrolled: 1-line block ×3, first 2 shown]
	s_load_dwordx2 s[2:3], s[4:5], 0x38
	v_accvgpr_write_b32 a6, v88
	v_accvgpr_write_b32 a70, v152
	;; [unrolled: 1-line block ×11, first 2 shown]
	v_accvgpr_write_b32 a32, v85            ;  Reload Reuse
	v_accvgpr_write_b32 a7, v89
	v_accvgpr_write_b32 a8, v90
	;; [unrolled: 1-line block ×34, first 2 shown]
	v_cmp_gt_u16_e32 vcc, 30, v86
	v_fma_f64 v[2:3], v[62:63], v[112:113], -v[2:3]
	ds_write_b128 v236, v[0:3] offset:14256
	s_waitcnt vmcnt(12)
	v_mul_f64 v[0:1], v[66:67], v[102:103]
	v_fmac_f64_e32 v[0:1], v[64:65], v[100:101]
	v_mul_f64 v[2:3], v[64:65], v[102:103]
	buffer_store_dword v100, off, s[64:67], 0 offset:64 ; 4-byte Folded Spill
	s_nop 0
	buffer_store_dword v101, off, s[64:67], 0 offset:68 ; 4-byte Folded Spill
	buffer_store_dword v102, off, s[64:67], 0 offset:72 ; 4-byte Folded Spill
	buffer_store_dword v103, off, s[64:67], 0 offset:76 ; 4-byte Folded Spill
	v_fma_f64 v[2:3], v[66:67], v[100:101], -v[2:3]
	ds_write_b128 v236, v[0:3] offset:15552
	s_waitcnt vmcnt(13)
	v_mul_f64 v[0:1], v[70:71], v[138:139]
	v_fmac_f64_e32 v[0:1], v[68:69], v[136:137]
	v_mul_f64 v[2:3], v[68:69], v[138:139]
	buffer_store_dword v136, off, s[64:67], 0 offset:48 ; 4-byte Folded Spill
	s_nop 0
	buffer_store_dword v137, off, s[64:67], 0 offset:52 ; 4-byte Folded Spill
	buffer_store_dword v138, off, s[64:67], 0 offset:56 ; 4-byte Folded Spill
	buffer_store_dword v139, off, s[64:67], 0 offset:60 ; 4-byte Folded Spill
	v_fma_f64 v[2:3], v[70:71], v[136:137], -v[2:3]
	ds_write_b128 v236, v[0:3] offset:16848
	s_waitcnt vmcnt(16)
	v_mul_f64 v[0:1], v[74:75], v[106:107]
	v_fmac_f64_e32 v[0:1], v[72:73], v[104:105]
	v_mul_f64 v[2:3], v[72:73], v[106:107]
	buffer_store_dword v104, off, s[64:67], 0 offset:32 ; 4-byte Folded Spill
	s_nop 0
	buffer_store_dword v105, off, s[64:67], 0 offset:36 ; 4-byte Folded Spill
	buffer_store_dword v106, off, s[64:67], 0 offset:40 ; 4-byte Folded Spill
	buffer_store_dword v107, off, s[64:67], 0 offset:44 ; 4-byte Folded Spill
	v_fma_f64 v[2:3], v[74:75], v[104:105], -v[2:3]
	ds_write_b128 v236, v[0:3] offset:18144
	s_waitcnt vmcnt(18)
	v_mul_f64 v[0:1], v[78:79], v[118:119]
	v_fmac_f64_e32 v[0:1], v[76:77], v[116:117]
	v_mul_f64 v[2:3], v[76:77], v[118:119]
	buffer_store_dword v116, off, s[64:67], 0 offset:16 ; 4-byte Folded Spill
	s_nop 0
	buffer_store_dword v117, off, s[64:67], 0 offset:20 ; 4-byte Folded Spill
	buffer_store_dword v118, off, s[64:67], 0 offset:24 ; 4-byte Folded Spill
	buffer_store_dword v119, off, s[64:67], 0 offset:28 ; 4-byte Folded Spill
	v_fma_f64 v[2:3], v[78:79], v[116:117], -v[2:3]
	ds_write_b128 v236, v[0:3] offset:19440
	s_waitcnt vmcnt(20)
	v_mul_f64 v[0:1], v[82:83], v[122:123]
	v_fmac_f64_e32 v[0:1], v[80:81], v[120:121]
	v_mul_f64 v[2:3], v[80:81], v[122:123]
	buffer_store_dword v120, off, s[64:67], 0 ; 4-byte Folded Spill
	s_nop 0
	buffer_store_dword v121, off, s[64:67], 0 offset:4 ; 4-byte Folded Spill
	buffer_store_dword v122, off, s[64:67], 0 offset:8 ; 4-byte Folded Spill
	;; [unrolled: 1-line block ×3, first 2 shown]
	v_fma_f64 v[2:3], v[82:83], v[120:121], -v[2:3]
	ds_write_b128 v236, v[0:3] offset:20736
	s_and_saveexec_b64 s[14:15], vcc
	s_cbranch_execz .LBB0_3
; %bb.2:
	v_mov_b32_e32 v0, 0xffffb230
	s_mulk_i32 s1, 0xb230
	v_mad_u64_u32 v[54:55], s[16:17], s0, v0, v[54:55]
	s_sub_i32 s0, s1, s0
	v_accvgpr_read_b32 v12, a33             ;  Reload Reuse
	v_add_u32_e32 v55, s0, v55
	v_accvgpr_read_b32 v13, a32             ;  Reload Reuse
	global_load_dwordx4 v[0:3], v[54:55], off
	global_load_dwordx4 v[4:7], v[12:13], off offset:816
	v_mov_b32_e32 v110, s13
	v_add_co_u32_e64 v54, s[0:1], s12, v54
	v_addc_co_u32_e64 v55, s[0:1], v55, v110, s[0:1]
	global_load_dwordx4 v[8:11], v[12:13], off offset:2112
	s_nop 0
	global_load_dwordx4 v[12:15], v[12:13], off offset:3408
	s_nop 0
	global_load_dwordx4 v[16:19], v[44:45], off offset:608
	global_load_dwordx4 v[20:23], v[44:45], off offset:1904
	;; [unrolled: 1-line block ×6, first 2 shown]
                                        ; kill: killed $vgpr44 killed $vgpr45
                                        ; kill: killed $vgpr46 killed $vgpr47
	global_load_dwordx4 v[40:43], v[48:49], off offset:192
	s_nop 0
	global_load_dwordx4 v[44:47], v[48:49], off offset:1488
	global_load_dwordx4 v[56:59], v[48:49], off offset:2784
	global_load_dwordx4 v[60:63], v[54:55], off
	v_add_co_u32_e64 v54, s[0:1], s12, v54
	v_addc_co_u32_e64 v55, s[0:1], v55, v110, s[0:1]
	global_load_dwordx4 v[64:67], v[54:55], off
	v_add_co_u32_e64 v54, s[0:1], s12, v54
	v_addc_co_u32_e64 v55, s[0:1], v55, v110, s[0:1]
	;; [unrolled: 3-line block ×12, first 2 shown]
	global_load_dwordx4 v[112:115], v[48:49], off offset:4080
	global_load_dwordx4 v[116:119], v[54:55], off
	global_load_dwordx4 v[120:123], v[50:51], off offset:1280
	v_add_co_u32_e64 v48, s[0:1], s12, v54
	v_addc_co_u32_e64 v49, s[0:1], v55, v110, s[0:1]
	global_load_dwordx4 v[124:127], v[48:49], off
	global_load_dwordx4 v[128:131], v[50:51], off offset:2576
	v_add_co_u32_e64 v54, s[0:1], s12, v48
	v_addc_co_u32_e64 v55, s[0:1], v49, v110, s[0:1]
	global_load_dwordx4 v[132:135], v[54:55], off
	s_nop 0
	global_load_dwordx4 v[48:51], v[50:51], off offset:3872
	v_add_co_u32_e64 v54, s[0:1], s12, v54
	v_addc_co_u32_e64 v55, s[0:1], v55, v110, s[0:1]
	global_load_dwordx4 v[136:139], v[54:55], off
	s_nop 0
	global_load_dwordx4 v[52:55], v[52:53], off offset:1072
	s_waitcnt vmcnt(32)
	v_mul_f64 v[108:109], v[2:3], v[6:7]
	v_fmac_f64_e32 v[108:109], v[0:1], v[4:5]
	v_mul_f64 v[0:1], v[0:1], v[6:7]
	v_fma_f64 v[110:111], v[2:3], v[4:5], -v[0:1]
	s_waitcnt vmcnt(20)
	v_mul_f64 v[0:1], v[62:63], v[10:11]
	v_mul_f64 v[2:3], v[60:61], v[10:11]
	v_fmac_f64_e32 v[0:1], v[60:61], v[8:9]
	v_fma_f64 v[2:3], v[62:63], v[8:9], -v[2:3]
	ds_write_b128 v236, v[0:3] offset:2112
	s_waitcnt vmcnt(19)
	v_mul_f64 v[0:1], v[66:67], v[14:15]
	v_mul_f64 v[2:3], v[64:65], v[14:15]
	v_fmac_f64_e32 v[0:1], v[64:65], v[12:13]
	v_fma_f64 v[2:3], v[66:67], v[12:13], -v[2:3]
	ds_write_b128 v236, v[0:3] offset:3408
	;; [unrolled: 6-line block ×11, first 2 shown]
	ds_write_b128 v236, v[108:111] offset:816
	s_waitcnt vmcnt(8)
	v_mul_f64 v[0:1], v[106:107], v[114:115]
	v_mul_f64 v[2:3], v[104:105], v[114:115]
	v_fmac_f64_e32 v[0:1], v[104:105], v[112:113]
	v_fma_f64 v[2:3], v[106:107], v[112:113], -v[2:3]
	ds_write_b128 v236, v[0:3] offset:16368
	s_waitcnt vmcnt(6)
	v_mul_f64 v[0:1], v[118:119], v[122:123]
	v_mul_f64 v[2:3], v[116:117], v[122:123]
	v_fmac_f64_e32 v[0:1], v[116:117], v[120:121]
	v_fma_f64 v[2:3], v[118:119], v[120:121], -v[2:3]
	;; [unrolled: 6-line block ×5, first 2 shown]
	ds_write_b128 v236, v[0:3] offset:21552
.LBB0_3:
	s_or_b64 exec, exec, s[14:15]
	s_waitcnt lgkmcnt(0)
	; wave barrier
	s_waitcnt lgkmcnt(0)
	ds_read_b128 v[124:127], v236
	ds_read_b128 v[132:135], v236 offset:1296
	ds_read_b128 v[120:123], v236 offset:2592
	;; [unrolled: 1-line block ×16, first 2 shown]
	s_load_dwordx2 s[4:5], s[4:5], 0x8
                                        ; implicit-def: $vgpr0_vgpr1
                                        ; implicit-def: $vgpr32_vgpr33
                                        ; implicit-def: $vgpr170_vgpr171
                                        ; implicit-def: $vgpr174_vgpr175
                                        ; implicit-def: $vgpr182_vgpr183
                                        ; implicit-def: $vgpr192_vgpr193
                                        ; implicit-def: $vgpr200_vgpr201
                                        ; implicit-def: $vgpr206_vgpr207
                                        ; implicit-def: $vgpr220_vgpr221
                                        ; implicit-def: $vgpr36_vgpr37
                                        ; implicit-def: $vgpr40_vgpr41
                                        ; implicit-def: $vgpr44_vgpr45
                                        ; implicit-def: $vgpr48_vgpr49
                                        ; implicit-def: $vgpr52_vgpr53
                                        ; implicit-def: $vgpr56_vgpr57
                                        ; implicit-def: $vgpr60_vgpr61
                                        ; implicit-def: $vgpr64_vgpr65
	s_and_saveexec_b64 s[0:1], vcc
	s_cbranch_execz .LBB0_5
; %bb.4:
	ds_read_b128 v[0:3], v236 offset:816
	ds_read_b128 v[32:35], v236 offset:2112
	;; [unrolled: 1-line block ×17, first 2 shown]
.LBB0_5:
	s_or_b64 exec, exec, s[0:1]
	s_waitcnt lgkmcnt(0)
	v_add_f64 v[6:7], v[126:127], v[134:135]
	v_add_f64 v[4:5], v[124:125], v[132:133]
	;; [unrolled: 1-line block ×31, first 2 shown]
	s_mov_b32 s28, 0x5d8e7cdc
	s_mov_b32 s34, 0x2a9d6da3
	;; [unrolled: 1-line block ×8, first 2 shown]
	v_add_f64 v[4:5], v[4:5], v[136:137]
	v_accvgpr_write_b32 a125, v7
	v_add_f64 v[10:11], v[134:135], -v[138:139]
	s_mov_b32 s29, 0xbfd71e95
	s_mov_b32 s35, 0xbfe58eea
	;; [unrolled: 1-line block ×9, first 2 shown]
	v_accvgpr_write_b32 a124, v6
	v_accvgpr_write_b32 a123, v5
	;; [unrolled: 1-line block ×3, first 2 shown]
	v_add_f64 v[4:5], v[132:133], v[136:137]
	v_add_f64 v[8:9], v[132:133], -v[136:137]
	v_mul_f64 v[12:13], v[10:11], s[28:29]
	s_mov_b32 s12, 0x370991
	v_mul_f64 v[20:21], v[10:11], s[34:35]
	s_mov_b32 s16, 0x75d4884
	;; [unrolled: 2-line block ×8, first 2 shown]
	s_mov_b32 s13, 0x3fedd6d0
	s_mov_b32 s17, 0x3fe7a5f6
	;; [unrolled: 1-line block ×7, first 2 shown]
	v_fma_f64 v[164:165], v[4:5], s[26:27], -v[10:11]
	v_fmac_f64_e32 v[10:11], s[26:27], v[4:5]
	v_add_f64 v[6:7], v[134:135], v[138:139]
	v_fma_f64 v[14:15], v[4:5], s[12:13], -v[12:13]
	v_mul_f64 v[16:17], v[8:9], s[28:29]
	v_fmac_f64_e32 v[12:13], s[12:13], v[4:5]
	v_fma_f64 v[22:23], v[4:5], s[16:17], -v[20:21]
	v_mul_f64 v[24:25], v[8:9], s[34:35]
	v_fmac_f64_e32 v[20:21], s[16:17], v[4:5]
	;; [unrolled: 3-line block ×7, first 2 shown]
	v_mul_f64 v[8:9], v[8:9], s[44:45]
	v_add_f64 v[4:5], v[124:125], v[10:11]
	v_add_f64 v[10:11], v[122:123], v[130:131]
	v_add_f64 v[122:123], v[122:123], -v[130:131]
	v_add_f64 v[14:15], v[124:125], v[14:15]
	v_fma_f64 v[18:19], s[12:13], v[6:7], v[16:17]
	v_add_f64 v[12:13], v[124:125], v[12:13]
	v_fma_f64 v[16:17], v[6:7], s[12:13], -v[16:17]
	v_add_f64 v[22:23], v[124:125], v[22:23]
	v_fma_f64 v[26:27], s[16:17], v[6:7], v[24:25]
	v_add_f64 v[20:21], v[124:125], v[20:21]
	v_fma_f64 v[24:25], v[6:7], s[16:17], -v[24:25]
	;; [unrolled: 4-line block ×7, first 2 shown]
	v_add_f64 v[164:165], v[124:125], v[164:165]
	v_fma_f64 v[166:167], s[26:27], v[6:7], v[8:9]
	v_fma_f64 v[6:7], v[6:7], s[26:27], -v[8:9]
	v_add_f64 v[8:9], v[120:121], v[128:129]
	v_mul_f64 v[124:125], v[122:123], s[34:35]
	v_add_f64 v[18:19], v[126:127], v[18:19]
	v_add_f64 v[16:17], v[126:127], v[16:17]
	v_add_f64 v[26:27], v[126:127], v[26:27]
	v_add_f64 v[24:25], v[126:127], v[24:25]
	v_add_f64 v[70:71], v[126:127], v[70:71]
	v_add_f64 v[68:69], v[126:127], v[68:69]
	v_add_f64 v[138:139], v[126:127], v[138:139]
	v_add_f64 v[136:137], v[126:127], v[136:137]
	v_add_f64 v[146:147], v[126:127], v[146:147]
	v_add_f64 v[144:145], v[126:127], v[144:145]
	v_add_f64 v[154:155], v[126:127], v[154:155]
	v_add_f64 v[152:153], v[126:127], v[152:153]
	v_add_f64 v[162:163], v[126:127], v[162:163]
	v_add_f64 v[160:161], v[126:127], v[160:161]
	v_add_f64 v[166:167], v[126:127], v[166:167]
	v_add_f64 v[6:7], v[126:127], v[6:7]
	v_add_f64 v[120:121], v[120:121], -v[128:129]
	v_fma_f64 v[126:127], v[8:9], s[16:17], -v[124:125]
	v_add_f64 v[14:15], v[126:127], v[14:15]
	v_mul_f64 v[126:127], v[120:121], s[34:35]
	v_fmac_f64_e32 v[124:125], s[16:17], v[8:9]
	v_add_f64 v[12:13], v[124:125], v[12:13]
	v_fma_f64 v[124:125], v[10:11], s[16:17], -v[126:127]
	v_add_f64 v[16:17], v[124:125], v[16:17]
	v_mul_f64 v[124:125], v[122:123], s[30:31]
	v_fma_f64 v[128:129], s[16:17], v[10:11], v[126:127]
	v_fma_f64 v[126:127], v[8:9], s[20:21], -v[124:125]
	v_add_f64 v[22:23], v[126:127], v[22:23]
	v_mul_f64 v[126:127], v[120:121], s[30:31]
	v_fmac_f64_e32 v[124:125], s[20:21], v[8:9]
	v_add_f64 v[20:21], v[124:125], v[20:21]
	v_fma_f64 v[124:125], v[10:11], s[20:21], -v[126:127]
	v_add_f64 v[24:25], v[124:125], v[24:25]
	v_mul_f64 v[124:125], v[122:123], s[40:41]
	v_add_f64 v[18:19], v[128:129], v[18:19]
	v_fma_f64 v[128:129], s[20:21], v[10:11], v[126:127]
	v_fma_f64 v[126:127], v[8:9], s[22:23], -v[124:125]
	v_add_f64 v[30:31], v[126:127], v[30:31]
	v_mul_f64 v[126:127], v[120:121], s[40:41]
	v_fmac_f64_e32 v[124:125], s[22:23], v[8:9]
	v_add_f64 v[28:29], v[124:125], v[28:29]
	v_fma_f64 v[124:125], v[10:11], s[22:23], -v[126:127]
	v_add_f64 v[26:27], v[128:129], v[26:27]
	v_fma_f64 v[128:129], s[22:23], v[10:11], v[126:127]
	v_add_f64 v[68:69], v[124:125], v[68:69]
	v_mul_f64 v[124:125], v[122:123], s[44:45]
	v_add_f64 v[70:71], v[128:129], v[70:71]
	v_fma_f64 v[126:127], v[8:9], s[26:27], -v[124:125]
	v_mul_f64 v[128:129], v[120:121], s[44:45]
	v_fmac_f64_e32 v[124:125], s[26:27], v[8:9]
	s_mov_b32 s51, 0x3fe0d888
	s_mov_b32 s50, s42
	v_fma_f64 v[130:131], s[26:27], v[10:11], v[128:129]
	v_add_f64 v[124:125], v[124:125], v[132:133]
	v_fma_f64 v[128:129], v[10:11], s[26:27], -v[128:129]
	v_mul_f64 v[132:133], v[122:123], s[50:51]
	v_add_f64 v[126:127], v[126:127], v[134:135]
	v_add_f64 v[128:129], v[128:129], v[136:137]
	v_fma_f64 v[134:135], v[8:9], s[24:25], -v[132:133]
	v_mul_f64 v[136:137], v[120:121], s[50:51]
	v_fmac_f64_e32 v[132:133], s[24:25], v[8:9]
	s_mov_b32 s53, 0x3feec746
	s_mov_b32 s52, s36
	v_add_f64 v[130:131], v[130:131], v[138:139]
	v_fma_f64 v[138:139], s[24:25], v[10:11], v[136:137]
	v_add_f64 v[132:133], v[132:133], v[140:141]
	v_fma_f64 v[136:137], v[10:11], s[24:25], -v[136:137]
	v_mul_f64 v[140:141], v[122:123], s[52:53]
	v_add_f64 v[134:135], v[134:135], v[142:143]
	v_add_f64 v[136:137], v[136:137], v[144:145]
	v_fma_f64 v[142:143], v[8:9], s[18:19], -v[140:141]
	v_mul_f64 v[144:145], v[120:121], s[52:53]
	v_fmac_f64_e32 v[140:141], s[18:19], v[8:9]
	s_mov_b32 s47, 0x3feca52d
	s_mov_b32 s46, s38
	v_add_f64 v[138:139], v[138:139], v[146:147]
	v_fma_f64 v[146:147], s[18:19], v[10:11], v[144:145]
	v_add_f64 v[140:141], v[140:141], v[148:149]
	v_fma_f64 v[144:145], v[10:11], s[18:19], -v[144:145]
	v_mul_f64 v[148:149], v[122:123], s[46:47]
	s_mov_b32 s49, 0x3fd71e95
	s_mov_b32 s48, s28
	v_add_f64 v[142:143], v[142:143], v[150:151]
	v_add_f64 v[144:145], v[144:145], v[152:153]
	v_fma_f64 v[150:151], v[8:9], s[14:15], -v[148:149]
	v_mul_f64 v[152:153], v[120:121], s[46:47]
	v_fmac_f64_e32 v[148:149], s[14:15], v[8:9]
	v_mul_f64 v[122:123], v[122:123], s[48:49]
	v_mul_f64 v[120:121], v[120:121], s[48:49]
	v_add_f64 v[146:147], v[146:147], v[154:155]
	v_add_f64 v[150:151], v[150:151], v[158:159]
	v_fma_f64 v[154:155], s[14:15], v[10:11], v[152:153]
	v_add_f64 v[148:149], v[148:149], v[156:157]
	v_fma_f64 v[152:153], v[10:11], s[14:15], -v[152:153]
	v_fma_f64 v[156:157], v[8:9], s[12:13], -v[122:123]
	v_fma_f64 v[158:159], s[12:13], v[10:11], v[120:121]
	v_fmac_f64_e32 v[122:123], s[12:13], v[8:9]
	v_fma_f64 v[8:9], v[10:11], s[12:13], -v[120:121]
	v_add_f64 v[10:11], v[114:115], v[118:119]
	v_add_f64 v[114:115], v[114:115], -v[118:119]
	v_add_f64 v[6:7], v[8:9], v[6:7]
	v_add_f64 v[8:9], v[112:113], v[116:117]
	v_add_f64 v[112:113], v[112:113], -v[116:117]
	v_mul_f64 v[116:117], v[114:115], s[38:39]
	v_fma_f64 v[118:119], v[8:9], s[14:15], -v[116:117]
	v_add_f64 v[14:15], v[118:119], v[14:15]
	v_mul_f64 v[118:119], v[112:113], s[38:39]
	v_fmac_f64_e32 v[116:117], s[14:15], v[8:9]
	v_add_f64 v[12:13], v[116:117], v[12:13]
	v_fma_f64 v[116:117], v[10:11], s[14:15], -v[118:119]
	v_add_f64 v[16:17], v[116:117], v[16:17]
	v_mul_f64 v[116:117], v[114:115], s[40:41]
	v_fma_f64 v[120:121], s[14:15], v[10:11], v[118:119]
	v_fma_f64 v[118:119], v[8:9], s[22:23], -v[116:117]
	v_add_f64 v[22:23], v[118:119], v[22:23]
	v_mul_f64 v[118:119], v[112:113], s[40:41]
	v_fmac_f64_e32 v[116:117], s[22:23], v[8:9]
	v_add_f64 v[20:21], v[116:117], v[20:21]
	v_fma_f64 v[116:117], v[10:11], s[22:23], -v[118:119]
	s_mov_b32 s57, 0x3fc7851a
	s_mov_b32 s56, s44
	v_add_f64 v[24:25], v[116:117], v[24:25]
	v_mul_f64 v[116:117], v[114:115], s[56:57]
	v_add_f64 v[18:19], v[120:121], v[18:19]
	v_fma_f64 v[120:121], s[22:23], v[10:11], v[118:119]
	v_fma_f64 v[118:119], v[8:9], s[26:27], -v[116:117]
	v_add_f64 v[30:31], v[118:119], v[30:31]
	v_mul_f64 v[118:119], v[112:113], s[56:57]
	v_fmac_f64_e32 v[116:117], s[26:27], v[8:9]
	v_add_f64 v[28:29], v[116:117], v[28:29]
	v_fma_f64 v[116:117], v[10:11], s[26:27], -v[118:119]
	v_add_f64 v[26:27], v[120:121], v[26:27]
	v_fma_f64 v[120:121], s[26:27], v[10:11], v[118:119]
	v_add_f64 v[68:69], v[116:117], v[68:69]
	v_mul_f64 v[116:117], v[114:115], s[52:53]
	v_add_f64 v[70:71], v[120:121], v[70:71]
	v_fma_f64 v[118:119], v[8:9], s[18:19], -v[116:117]
	v_mul_f64 v[120:121], v[112:113], s[52:53]
	v_fmac_f64_e32 v[116:117], s[18:19], v[8:9]
	s_mov_b32 s55, 0x3fe58eea
	s_mov_b32 s54, s34
	v_add_f64 v[4:5], v[122:123], v[4:5]
	v_fma_f64 v[122:123], s[18:19], v[10:11], v[120:121]
	v_add_f64 v[116:117], v[116:117], v[124:125]
	v_fma_f64 v[120:121], v[10:11], s[18:19], -v[120:121]
	v_mul_f64 v[124:125], v[114:115], s[54:55]
	v_add_f64 v[118:119], v[118:119], v[126:127]
	v_add_f64 v[120:121], v[120:121], v[128:129]
	v_fma_f64 v[126:127], v[8:9], s[16:17], -v[124:125]
	v_mul_f64 v[128:129], v[112:113], s[54:55]
	v_fmac_f64_e32 v[124:125], s[16:17], v[8:9]
	v_add_f64 v[122:123], v[122:123], v[130:131]
	v_fma_f64 v[130:131], s[16:17], v[10:11], v[128:129]
	v_add_f64 v[124:125], v[124:125], v[132:133]
	v_fma_f64 v[128:129], v[10:11], s[16:17], -v[128:129]
	v_mul_f64 v[132:133], v[114:115], s[28:29]
	v_add_f64 v[126:127], v[126:127], v[134:135]
	v_add_f64 v[128:129], v[128:129], v[136:137]
	v_fma_f64 v[134:135], v[8:9], s[12:13], -v[132:133]
	v_mul_f64 v[136:137], v[112:113], s[28:29]
	v_fmac_f64_e32 v[132:133], s[12:13], v[8:9]
	;; [unrolled: 10-line block ×3, first 2 shown]
	v_mul_f64 v[114:115], v[114:115], s[42:43]
	v_mul_f64 v[112:113], v[112:113], s[42:43]
	v_add_f64 v[138:139], v[138:139], v[146:147]
	v_add_f64 v[142:143], v[142:143], v[150:151]
	v_fma_f64 v[146:147], s[20:21], v[10:11], v[144:145]
	v_add_f64 v[140:141], v[140:141], v[148:149]
	v_fma_f64 v[144:145], v[10:11], s[20:21], -v[144:145]
	v_fma_f64 v[148:149], v[8:9], s[24:25], -v[114:115]
	v_fma_f64 v[150:151], s[24:25], v[10:11], v[112:113]
	v_fmac_f64_e32 v[114:115], s[24:25], v[8:9]
	v_fma_f64 v[8:9], v[10:11], s[24:25], -v[112:113]
	v_add_f64 v[10:11], v[106:107], v[110:111]
	v_add_f64 v[106:107], v[106:107], -v[110:111]
	v_add_f64 v[6:7], v[8:9], v[6:7]
	v_add_f64 v[8:9], v[104:105], v[108:109]
	v_add_f64 v[104:105], v[104:105], -v[108:109]
	v_mul_f64 v[108:109], v[106:107], s[30:31]
	v_fma_f64 v[110:111], v[8:9], s[20:21], -v[108:109]
	v_add_f64 v[14:15], v[110:111], v[14:15]
	v_mul_f64 v[110:111], v[104:105], s[30:31]
	v_fmac_f64_e32 v[108:109], s[20:21], v[8:9]
	v_add_f64 v[12:13], v[108:109], v[12:13]
	v_fma_f64 v[108:109], v[10:11], s[20:21], -v[110:111]
	v_add_f64 v[16:17], v[108:109], v[16:17]
	v_mul_f64 v[108:109], v[106:107], s[44:45]
	v_fma_f64 v[112:113], s[20:21], v[10:11], v[110:111]
	v_fma_f64 v[110:111], v[8:9], s[26:27], -v[108:109]
	v_add_f64 v[22:23], v[110:111], v[22:23]
	v_mul_f64 v[110:111], v[104:105], s[44:45]
	v_fmac_f64_e32 v[108:109], s[26:27], v[8:9]
	v_add_f64 v[20:21], v[108:109], v[20:21]
	v_fma_f64 v[108:109], v[10:11], s[26:27], -v[110:111]
	v_add_f64 v[24:25], v[108:109], v[24:25]
	v_mul_f64 v[108:109], v[106:107], s[52:53]
	v_add_f64 v[18:19], v[112:113], v[18:19]
	v_fma_f64 v[112:113], s[26:27], v[10:11], v[110:111]
	v_fma_f64 v[110:111], v[8:9], s[18:19], -v[108:109]
	v_add_f64 v[30:31], v[110:111], v[30:31]
	v_mul_f64 v[110:111], v[104:105], s[52:53]
	v_fmac_f64_e32 v[108:109], s[18:19], v[8:9]
	v_add_f64 v[28:29], v[108:109], v[28:29]
	v_fma_f64 v[108:109], v[10:11], s[18:19], -v[110:111]
	v_add_f64 v[26:27], v[112:113], v[26:27]
	v_fma_f64 v[112:113], s[18:19], v[10:11], v[110:111]
	v_add_f64 v[68:69], v[108:109], v[68:69]
	v_mul_f64 v[108:109], v[106:107], s[48:49]
	v_add_f64 v[70:71], v[112:113], v[70:71]
	v_fma_f64 v[110:111], v[8:9], s[12:13], -v[108:109]
	v_mul_f64 v[112:113], v[104:105], s[48:49]
	v_fmac_f64_e32 v[108:109], s[12:13], v[8:9]
	v_add_f64 v[4:5], v[114:115], v[4:5]
	v_fma_f64 v[114:115], s[12:13], v[10:11], v[112:113]
	v_add_f64 v[108:109], v[108:109], v[116:117]
	v_fma_f64 v[112:113], v[10:11], s[12:13], -v[112:113]
	v_mul_f64 v[116:117], v[106:107], s[38:39]
	v_add_f64 v[110:111], v[110:111], v[118:119]
	v_add_f64 v[112:113], v[112:113], v[120:121]
	v_fma_f64 v[118:119], v[8:9], s[14:15], -v[116:117]
	v_mul_f64 v[120:121], v[104:105], s[38:39]
	v_fmac_f64_e32 v[116:117], s[14:15], v[8:9]
	v_add_f64 v[114:115], v[114:115], v[122:123]
	v_fma_f64 v[122:123], s[14:15], v[10:11], v[120:121]
	v_add_f64 v[116:117], v[116:117], v[124:125]
	v_fma_f64 v[120:121], v[10:11], s[14:15], -v[120:121]
	v_mul_f64 v[124:125], v[106:107], s[42:43]
	v_add_f64 v[118:119], v[118:119], v[126:127]
	v_add_f64 v[120:121], v[120:121], v[128:129]
	v_fma_f64 v[126:127], v[8:9], s[24:25], -v[124:125]
	v_mul_f64 v[128:129], v[104:105], s[42:43]
	v_fmac_f64_e32 v[124:125], s[24:25], v[8:9]
	s_mov_b32 s59, 0x3fe9895b
	s_mov_b32 s58, s40
	v_add_f64 v[122:123], v[122:123], v[130:131]
	v_fma_f64 v[130:131], s[24:25], v[10:11], v[128:129]
	v_add_f64 v[124:125], v[124:125], v[132:133]
	v_fma_f64 v[128:129], v[10:11], s[24:25], -v[128:129]
	v_mul_f64 v[132:133], v[106:107], s[58:59]
	v_add_f64 v[126:127], v[126:127], v[134:135]
	v_add_f64 v[128:129], v[128:129], v[136:137]
	v_fma_f64 v[134:135], v[8:9], s[22:23], -v[132:133]
	v_mul_f64 v[136:137], v[104:105], s[58:59]
	v_fmac_f64_e32 v[132:133], s[22:23], v[8:9]
	v_mul_f64 v[106:107], v[106:107], s[54:55]
	v_mul_f64 v[104:105], v[104:105], s[54:55]
	v_add_f64 v[130:131], v[130:131], v[138:139]
	v_add_f64 v[134:135], v[134:135], v[142:143]
	v_fma_f64 v[138:139], s[22:23], v[10:11], v[136:137]
	v_add_f64 v[132:133], v[132:133], v[140:141]
	v_fma_f64 v[136:137], v[10:11], s[22:23], -v[136:137]
	v_fma_f64 v[140:141], v[8:9], s[16:17], -v[106:107]
	v_fma_f64 v[142:143], s[16:17], v[10:11], v[104:105]
	v_fmac_f64_e32 v[106:107], s[16:17], v[8:9]
	v_fma_f64 v[8:9], v[10:11], s[16:17], -v[104:105]
	v_add_f64 v[10:11], v[98:99], v[102:103]
	v_add_f64 v[98:99], v[98:99], -v[102:103]
	v_add_f64 v[6:7], v[8:9], v[6:7]
	v_add_f64 v[8:9], v[96:97], v[100:101]
	v_add_f64 v[96:97], v[96:97], -v[100:101]
	v_mul_f64 v[100:101], v[98:99], s[36:37]
	v_fma_f64 v[102:103], v[8:9], s[18:19], -v[100:101]
	v_add_f64 v[14:15], v[102:103], v[14:15]
	v_mul_f64 v[102:103], v[96:97], s[36:37]
	v_fmac_f64_e32 v[100:101], s[18:19], v[8:9]
	v_add_f64 v[12:13], v[100:101], v[12:13]
	v_fma_f64 v[100:101], v[10:11], s[18:19], -v[102:103]
	v_add_f64 v[16:17], v[100:101], v[16:17]
	v_mul_f64 v[100:101], v[98:99], s[50:51]
	v_fma_f64 v[104:105], s[18:19], v[10:11], v[102:103]
	v_fma_f64 v[102:103], v[8:9], s[24:25], -v[100:101]
	v_add_f64 v[22:23], v[102:103], v[22:23]
	v_mul_f64 v[102:103], v[96:97], s[50:51]
	v_fmac_f64_e32 v[100:101], s[24:25], v[8:9]
	v_add_f64 v[20:21], v[100:101], v[20:21]
	v_fma_f64 v[100:101], v[10:11], s[24:25], -v[102:103]
	v_add_f64 v[24:25], v[100:101], v[24:25]
	v_mul_f64 v[100:101], v[98:99], s[54:55]
	v_add_f64 v[18:19], v[104:105], v[18:19]
	v_fma_f64 v[104:105], s[24:25], v[10:11], v[102:103]
	v_fma_f64 v[102:103], v[8:9], s[16:17], -v[100:101]
	v_add_f64 v[30:31], v[102:103], v[30:31]
	v_mul_f64 v[102:103], v[96:97], s[54:55]
	v_fmac_f64_e32 v[100:101], s[16:17], v[8:9]
	v_add_f64 v[28:29], v[100:101], v[28:29]
	v_fma_f64 v[100:101], v[10:11], s[16:17], -v[102:103]
	v_add_f64 v[26:27], v[104:105], v[26:27]
	v_fma_f64 v[104:105], s[16:17], v[10:11], v[102:103]
	v_add_f64 v[68:69], v[100:101], v[68:69]
	v_mul_f64 v[100:101], v[98:99], s[38:39]
	v_add_f64 v[70:71], v[104:105], v[70:71]
	v_fma_f64 v[102:103], v[8:9], s[14:15], -v[100:101]
	v_mul_f64 v[104:105], v[96:97], s[38:39]
	v_fmac_f64_e32 v[100:101], s[14:15], v[8:9]
	v_add_f64 v[4:5], v[106:107], v[4:5]
	v_fma_f64 v[106:107], s[14:15], v[10:11], v[104:105]
	v_add_f64 v[100:101], v[100:101], v[108:109]
	v_fma_f64 v[104:105], v[10:11], s[14:15], -v[104:105]
	v_mul_f64 v[108:109], v[98:99], s[44:45]
	v_add_f64 v[102:103], v[102:103], v[110:111]
	v_add_f64 v[104:105], v[104:105], v[112:113]
	v_fma_f64 v[110:111], v[8:9], s[26:27], -v[108:109]
	v_mul_f64 v[112:113], v[96:97], s[44:45]
	v_fmac_f64_e32 v[108:109], s[26:27], v[8:9]
	s_mov_b32 s61, 0x3fefdd0d
	s_mov_b32 s60, s30
	v_add_f64 v[106:107], v[106:107], v[114:115]
	v_fma_f64 v[114:115], s[26:27], v[10:11], v[112:113]
	v_add_f64 v[108:109], v[108:109], v[116:117]
	v_fma_f64 v[112:113], v[10:11], s[26:27], -v[112:113]
	v_mul_f64 v[116:117], v[98:99], s[60:61]
	v_add_f64 v[110:111], v[110:111], v[118:119]
	v_add_f64 v[112:113], v[112:113], v[120:121]
	v_fma_f64 v[118:119], v[8:9], s[20:21], -v[116:117]
	v_mul_f64 v[120:121], v[96:97], s[60:61]
	v_fmac_f64_e32 v[116:117], s[20:21], v[8:9]
	v_add_f64 v[114:115], v[114:115], v[122:123]
	v_fma_f64 v[122:123], s[20:21], v[10:11], v[120:121]
	v_add_f64 v[116:117], v[116:117], v[124:125]
	v_fma_f64 v[120:121], v[10:11], s[20:21], -v[120:121]
	v_mul_f64 v[124:125], v[98:99], s[28:29]
	v_add_f64 v[118:119], v[118:119], v[126:127]
	v_add_f64 v[120:121], v[120:121], v[128:129]
	v_fma_f64 v[126:127], v[8:9], s[12:13], -v[124:125]
	v_mul_f64 v[128:129], v[96:97], s[28:29]
	v_fmac_f64_e32 v[124:125], s[12:13], v[8:9]
	v_mul_f64 v[98:99], v[98:99], s[40:41]
	v_mul_f64 v[96:97], v[96:97], s[40:41]
	v_add_f64 v[122:123], v[122:123], v[130:131]
	v_add_f64 v[126:127], v[126:127], v[134:135]
	v_fma_f64 v[130:131], s[12:13], v[10:11], v[128:129]
	v_add_f64 v[124:125], v[124:125], v[132:133]
	v_fma_f64 v[128:129], v[10:11], s[12:13], -v[128:129]
	v_fma_f64 v[132:133], v[8:9], s[22:23], -v[98:99]
	v_fma_f64 v[134:135], s[22:23], v[10:11], v[96:97]
	v_fmac_f64_e32 v[98:99], s[22:23], v[8:9]
	v_fma_f64 v[8:9], v[10:11], s[22:23], -v[96:97]
	v_add_f64 v[10:11], v[90:91], v[94:95]
	v_add_f64 v[90:91], v[90:91], -v[94:95]
	v_add_f64 v[6:7], v[8:9], v[6:7]
	v_add_f64 v[8:9], v[88:89], v[92:93]
	v_add_f64 v[88:89], v[88:89], -v[92:93]
	v_mul_f64 v[92:93], v[90:91], s[40:41]
	v_fma_f64 v[94:95], v[8:9], s[22:23], -v[92:93]
	v_add_f64 v[14:15], v[94:95], v[14:15]
	v_mul_f64 v[94:95], v[88:89], s[40:41]
	v_fmac_f64_e32 v[92:93], s[22:23], v[8:9]
	v_add_f64 v[12:13], v[92:93], v[12:13]
	v_fma_f64 v[92:93], v[10:11], s[22:23], -v[94:95]
	v_add_f64 v[16:17], v[92:93], v[16:17]
	v_mul_f64 v[92:93], v[90:91], s[52:53]
	v_fma_f64 v[96:97], s[22:23], v[10:11], v[94:95]
	v_fma_f64 v[94:95], v[8:9], s[18:19], -v[92:93]
	v_add_f64 v[22:23], v[94:95], v[22:23]
	v_mul_f64 v[94:95], v[88:89], s[52:53]
	v_fmac_f64_e32 v[92:93], s[18:19], v[8:9]
	v_add_f64 v[20:21], v[92:93], v[20:21]
	v_fma_f64 v[92:93], v[10:11], s[18:19], -v[94:95]
	v_add_f64 v[24:25], v[92:93], v[24:25]
	v_mul_f64 v[92:93], v[90:91], s[28:29]
	v_add_f64 v[18:19], v[96:97], v[18:19]
	v_fma_f64 v[96:97], s[18:19], v[10:11], v[94:95]
	v_fma_f64 v[94:95], v[8:9], s[12:13], -v[92:93]
	v_add_f64 v[30:31], v[94:95], v[30:31]
	v_mul_f64 v[94:95], v[88:89], s[28:29]
	v_fmac_f64_e32 v[92:93], s[12:13], v[8:9]
	v_add_f64 v[28:29], v[92:93], v[28:29]
	v_fma_f64 v[92:93], v[10:11], s[12:13], -v[94:95]
	v_add_f64 v[26:27], v[96:97], v[26:27]
	v_fma_f64 v[96:97], s[12:13], v[10:11], v[94:95]
	v_add_f64 v[68:69], v[92:93], v[68:69]
	v_mul_f64 v[92:93], v[90:91], s[42:43]
	v_add_f64 v[70:71], v[96:97], v[70:71]
	v_fma_f64 v[94:95], v[8:9], s[24:25], -v[92:93]
	v_mul_f64 v[96:97], v[88:89], s[42:43]
	v_fmac_f64_e32 v[92:93], s[24:25], v[8:9]
	v_add_f64 v[4:5], v[98:99], v[4:5]
	v_fma_f64 v[98:99], s[24:25], v[10:11], v[96:97]
	v_add_f64 v[92:93], v[92:93], v[100:101]
	v_fma_f64 v[96:97], v[10:11], s[24:25], -v[96:97]
	v_mul_f64 v[100:101], v[90:91], s[60:61]
	v_add_f64 v[94:95], v[94:95], v[102:103]
	v_add_f64 v[96:97], v[96:97], v[104:105]
	v_fma_f64 v[102:103], v[8:9], s[20:21], -v[100:101]
	v_mul_f64 v[104:105], v[88:89], s[60:61]
	v_fmac_f64_e32 v[100:101], s[20:21], v[8:9]
	v_add_f64 v[98:99], v[98:99], v[106:107]
	v_fma_f64 v[106:107], s[20:21], v[10:11], v[104:105]
	v_add_f64 v[100:101], v[100:101], v[108:109]
	v_fma_f64 v[104:105], v[10:11], s[20:21], -v[104:105]
	v_mul_f64 v[108:109], v[90:91], s[34:35]
	v_add_f64 v[102:103], v[102:103], v[110:111]
	;; [unrolled: 10-line block ×3, first 2 shown]
	v_add_f64 v[112:113], v[112:113], v[120:121]
	v_fma_f64 v[118:119], v[8:9], s[26:27], -v[116:117]
	v_mul_f64 v[120:121], v[88:89], s[44:45]
	v_fmac_f64_e32 v[116:117], s[26:27], v[8:9]
	v_mul_f64 v[90:91], v[90:91], s[46:47]
	v_mul_f64 v[88:89], v[88:89], s[46:47]
	v_add_f64 v[114:115], v[114:115], v[122:123]
	v_add_f64 v[118:119], v[118:119], v[126:127]
	v_fma_f64 v[122:123], s[26:27], v[10:11], v[120:121]
	v_add_f64 v[116:117], v[116:117], v[124:125]
	v_fma_f64 v[120:121], v[10:11], s[26:27], -v[120:121]
	v_fma_f64 v[124:125], v[8:9], s[14:15], -v[90:91]
	v_fma_f64 v[126:127], s[14:15], v[10:11], v[88:89]
	v_fmac_f64_e32 v[90:91], s[14:15], v[8:9]
	v_fma_f64 v[8:9], v[10:11], s[14:15], -v[88:89]
	v_add_f64 v[10:11], v[82:83], v[86:87]
	v_add_f64 v[82:83], v[82:83], -v[86:87]
	v_add_f64 v[6:7], v[8:9], v[6:7]
	v_add_f64 v[8:9], v[80:81], v[84:85]
	v_add_f64 v[80:81], v[80:81], -v[84:85]
	v_mul_f64 v[84:85], v[82:83], s[42:43]
	v_fma_f64 v[86:87], v[8:9], s[24:25], -v[84:85]
	v_add_f64 v[14:15], v[86:87], v[14:15]
	v_mul_f64 v[86:87], v[80:81], s[42:43]
	v_fmac_f64_e32 v[84:85], s[24:25], v[8:9]
	v_add_f64 v[12:13], v[84:85], v[12:13]
	v_fma_f64 v[84:85], v[10:11], s[24:25], -v[86:87]
	v_add_f64 v[16:17], v[84:85], v[16:17]
	v_mul_f64 v[84:85], v[82:83], s[46:47]
	v_fma_f64 v[88:89], s[24:25], v[10:11], v[86:87]
	v_fma_f64 v[86:87], v[8:9], s[14:15], -v[84:85]
	v_add_f64 v[22:23], v[86:87], v[22:23]
	v_mul_f64 v[86:87], v[80:81], s[46:47]
	v_fmac_f64_e32 v[84:85], s[14:15], v[8:9]
	v_add_f64 v[20:21], v[84:85], v[20:21]
	v_fma_f64 v[84:85], v[10:11], s[14:15], -v[86:87]
	v_add_f64 v[24:25], v[84:85], v[24:25]
	v_mul_f64 v[84:85], v[82:83], s[30:31]
	v_add_f64 v[18:19], v[88:89], v[18:19]
	v_fma_f64 v[88:89], s[14:15], v[10:11], v[86:87]
	v_fma_f64 v[86:87], v[8:9], s[20:21], -v[84:85]
	v_add_f64 v[30:31], v[86:87], v[30:31]
	v_mul_f64 v[86:87], v[80:81], s[30:31]
	v_fmac_f64_e32 v[84:85], s[20:21], v[8:9]
	v_add_f64 v[152:153], v[152:153], v[160:161]
	v_add_f64 v[28:29], v[84:85], v[28:29]
	v_fma_f64 v[84:85], v[10:11], s[20:21], -v[86:87]
	v_add_f64 v[154:155], v[154:155], v[162:163]
	v_add_f64 v[144:145], v[144:145], v[152:153]
	;; [unrolled: 1-line block ×3, first 2 shown]
	v_mul_f64 v[84:85], v[82:83], s[58:59]
	v_add_f64 v[146:147], v[146:147], v[154:155]
	v_add_f64 v[136:137], v[136:137], v[144:145]
	;; [unrolled: 1-line block ×3, first 2 shown]
	v_fma_f64 v[88:89], s[20:21], v[10:11], v[86:87]
	v_fma_f64 v[86:87], v[8:9], s[22:23], -v[84:85]
	v_add_f64 v[138:139], v[138:139], v[146:147]
	v_add_f64 v[128:129], v[128:129], v[136:137]
	;; [unrolled: 1-line block ×4, first 2 shown]
	v_mul_f64 v[86:87], v[80:81], s[58:59]
	v_fmac_f64_e32 v[84:85], s[22:23], v[8:9]
	v_add_f64 v[130:131], v[130:131], v[138:139]
	v_add_f64 v[120:121], v[120:121], v[128:129]
	;; [unrolled: 1-line block ×3, first 2 shown]
	v_fma_f64 v[84:85], v[10:11], s[22:23], -v[86:87]
	v_add_f64 v[158:159], v[158:159], v[166:167]
	v_add_f64 v[122:123], v[122:123], v[130:131]
	;; [unrolled: 1-line block ×3, first 2 shown]
	v_mul_f64 v[84:85], v[82:83], s[28:29]
	v_add_f64 v[150:151], v[150:151], v[158:159]
	v_add_f64 v[4:5], v[90:91], v[4:5]
	v_fma_f64 v[90:91], s[22:23], v[10:11], v[86:87]
	v_fma_f64 v[86:87], v[8:9], s[12:13], -v[84:85]
	v_add_f64 v[142:143], v[142:143], v[150:151]
	v_add_f64 v[102:103], v[86:87], v[102:103]
	v_mul_f64 v[86:87], v[80:81], s[28:29]
	v_fmac_f64_e32 v[84:85], s[12:13], v[8:9]
	v_add_f64 v[134:135], v[134:135], v[142:143]
	v_add_f64 v[100:101], v[84:85], v[100:101]
	v_fma_f64 v[84:85], v[10:11], s[12:13], -v[86:87]
	v_add_f64 v[126:127], v[126:127], v[134:135]
	v_add_f64 v[134:135], v[84:85], v[104:105]
	v_mul_f64 v[84:85], v[82:83], s[44:45]
	v_add_f64 v[156:157], v[156:157], v[164:165]
	v_fma_f64 v[92:93], s[12:13], v[10:11], v[86:87]
	v_fma_f64 v[86:87], v[8:9], s[26:27], -v[84:85]
	v_add_f64 v[148:149], v[148:149], v[156:157]
	v_add_f64 v[110:111], v[86:87], v[110:111]
	v_mul_f64 v[86:87], v[80:81], s[44:45]
	v_fmac_f64_e32 v[84:85], s[26:27], v[8:9]
	v_add_f64 v[140:141], v[140:141], v[148:149]
	v_add_f64 v[108:109], v[84:85], v[108:109]
	v_fma_f64 v[84:85], v[10:11], s[26:27], -v[86:87]
	v_add_f64 v[132:133], v[132:133], v[140:141]
	v_add_f64 v[138:139], v[84:85], v[112:113]
	v_mul_f64 v[84:85], v[82:83], s[54:55]
	v_add_f64 v[124:125], v[124:125], v[132:133]
	v_add_f64 v[132:133], v[92:93], v[106:107]
	v_fma_f64 v[92:93], s[26:27], v[10:11], v[86:87]
	v_fma_f64 v[86:87], v[8:9], s[16:17], -v[84:85]
	v_add_f64 v[140:141], v[86:87], v[118:119]
	v_mul_f64 v[86:87], v[80:81], s[54:55]
	v_fmac_f64_e32 v[84:85], s[16:17], v[8:9]
	v_add_f64 v[142:143], v[84:85], v[116:117]
	v_fma_f64 v[84:85], v[10:11], s[16:17], -v[86:87]
	v_mul_f64 v[82:83], v[82:83], s[36:37]
	v_mul_f64 v[80:81], v[80:81], s[36:37]
	v_add_f64 v[144:145], v[84:85], v[120:121]
	v_fma_f64 v[84:85], v[8:9], s[18:19], -v[82:83]
	v_fmac_f64_e32 v[82:83], s[18:19], v[8:9]
	v_fma_f64 v[8:9], v[10:11], s[18:19], -v[80:81]
	v_add_f64 v[152:153], v[74:75], -v[78:79]
	v_add_f64 v[6:7], v[8:9], v[6:7]
	v_add_f64 v[8:9], v[72:73], v[76:77]
	v_add_f64 v[150:151], v[72:73], -v[76:77]
	v_mul_f64 v[72:73], v[152:153], s[44:45]
	v_add_f64 v[136:137], v[92:93], v[114:115]
	v_fma_f64 v[92:93], s[16:17], v[10:11], v[86:87]
	v_add_f64 v[146:147], v[84:85], v[124:125]
	v_fma_f64 v[84:85], s[18:19], v[10:11], v[80:81]
	v_add_f64 v[10:11], v[74:75], v[78:79]
	v_fma_f64 v[74:75], v[8:9], s[26:27], -v[72:73]
	v_add_f64 v[148:149], v[84:85], v[126:127]
	v_add_f64 v[84:85], v[74:75], v[14:15]
	v_mul_f64 v[14:15], v[150:151], s[44:45]
	v_fmac_f64_e32 v[72:73], s[26:27], v[8:9]
	v_fma_f64 v[74:75], s[26:27], v[10:11], v[14:15]
	v_add_f64 v[72:73], v[72:73], v[12:13]
	v_fma_f64 v[12:13], v[10:11], s[26:27], -v[14:15]
	v_add_f64 v[86:87], v[74:75], v[18:19]
	v_add_f64 v[74:75], v[12:13], v[16:17]
	v_mul_f64 v[12:13], v[152:153], s[48:49]
	v_fma_f64 v[14:15], v[8:9], s[12:13], -v[12:13]
	v_add_f64 v[122:123], v[92:93], v[122:123]
	v_add_f64 v[92:93], v[14:15], v[22:23]
	v_mul_f64 v[14:15], v[150:151], s[48:49]
	v_fmac_f64_e32 v[12:13], s[12:13], v[8:9]
	v_add_f64 v[76:77], v[12:13], v[20:21]
	v_fma_f64 v[12:13], v[10:11], s[12:13], -v[14:15]
	v_add_f64 v[78:79], v[12:13], v[24:25]
	v_mul_f64 v[12:13], v[152:153], s[42:43]
	v_fma_f64 v[16:17], s[12:13], v[10:11], v[14:15]
	v_fma_f64 v[14:15], v[8:9], s[24:25], -v[12:13]
	v_add_f64 v[96:97], v[14:15], v[30:31]
	v_mul_f64 v[14:15], v[150:151], s[42:43]
	v_fmac_f64_e32 v[12:13], s[24:25], v[8:9]
	v_add_f64 v[80:81], v[12:13], v[28:29]
	v_fma_f64 v[12:13], v[10:11], s[24:25], -v[14:15]
	v_add_f64 v[4:5], v[82:83], v[4:5]
	v_add_f64 v[82:83], v[12:13], v[68:69]
	v_mul_f64 v[12:13], v[152:153], s[54:55]
	v_add_f64 v[94:95], v[16:17], v[26:27]
	v_fma_f64 v[16:17], s[24:25], v[10:11], v[14:15]
	v_fma_f64 v[14:15], v[8:9], s[16:17], -v[12:13]
	v_add_f64 v[104:105], v[14:15], v[88:89]
	v_mul_f64 v[14:15], v[150:151], s[54:55]
	v_fmac_f64_e32 v[12:13], s[16:17], v[8:9]
	v_add_f64 v[90:91], v[90:91], v[98:99]
	v_add_f64 v[98:99], v[16:17], v[70:71]
	v_fma_f64 v[16:17], s[16:17], v[10:11], v[14:15]
	v_add_f64 v[88:89], v[12:13], v[128:129]
	v_fma_f64 v[12:13], v[10:11], s[16:17], -v[14:15]
	v_add_f64 v[106:107], v[16:17], v[90:91]
	v_add_f64 v[90:91], v[12:13], v[130:131]
	v_mul_f64 v[12:13], v[152:153], s[40:41]
	v_fma_f64 v[14:15], v[8:9], s[22:23], -v[12:13]
	v_add_f64 v[112:113], v[14:15], v[102:103]
	v_mul_f64 v[14:15], v[150:151], s[40:41]
	v_fmac_f64_e32 v[12:13], s[22:23], v[8:9]
	v_add_f64 v[100:101], v[12:13], v[100:101]
	v_fma_f64 v[12:13], v[10:11], s[22:23], -v[14:15]
	v_add_f64 v[102:103], v[12:13], v[134:135]
	v_mul_f64 v[12:13], v[152:153], s[46:47]
	v_fma_f64 v[16:17], s[22:23], v[10:11], v[14:15]
	v_fma_f64 v[14:15], v[8:9], s[14:15], -v[12:13]
	v_add_f64 v[116:117], v[14:15], v[110:111]
	v_mul_f64 v[14:15], v[150:151], s[46:47]
	v_fmac_f64_e32 v[12:13], s[14:15], v[8:9]
	v_add_f64 v[108:109], v[12:13], v[108:109]
	v_fma_f64 v[12:13], v[10:11], s[14:15], -v[14:15]
	v_add_f64 v[110:111], v[12:13], v[138:139]
	v_mul_f64 v[12:13], v[152:153], s[36:37]
	v_add_f64 v[114:115], v[16:17], v[132:133]
	v_fma_f64 v[16:17], s[14:15], v[10:11], v[14:15]
	v_fma_f64 v[14:15], v[8:9], s[18:19], -v[12:13]
	v_add_f64 v[124:125], v[14:15], v[140:141]
	v_mul_f64 v[14:15], v[150:151], s[36:37]
	v_fmac_f64_e32 v[12:13], s[18:19], v[8:9]
	v_add_f64 v[118:119], v[16:17], v[136:137]
	v_fma_f64 v[16:17], s[18:19], v[10:11], v[14:15]
	v_add_f64 v[120:121], v[12:13], v[142:143]
	v_fma_f64 v[12:13], v[10:11], s[18:19], -v[14:15]
	v_add_f64 v[126:127], v[16:17], v[122:123]
	v_add_f64 v[122:123], v[12:13], v[144:145]
	v_mul_f64 v[12:13], v[152:153], s[60:61]
	v_fma_f64 v[14:15], v[8:9], s[20:21], -v[12:13]
	v_add_f64 v[128:129], v[14:15], v[146:147]
	v_mul_f64 v[14:15], v[150:151], s[60:61]
	v_fmac_f64_e32 v[12:13], s[20:21], v[8:9]
	v_add_f64 v[132:133], v[12:13], v[4:5]
	v_fma_f64 v[4:5], v[10:11], s[20:21], -v[14:15]
	v_add_f64 v[238:239], v[34:35], -v[66:67]
	v_add_f64 v[134:135], v[4:5], v[6:7]
	v_mul_f64 v[4:5], v[238:239], s[28:29]
	v_add_f64 v[158:159], v[32:33], v[64:65]
	v_add_f64 v[234:235], v[32:33], -v[64:65]
	v_accvgpr_write_b32 a127, v5
	v_add_f64 v[160:161], v[34:35], v[66:67]
	v_mul_f64 v[6:7], v[234:235], s[28:29]
	v_accvgpr_write_b32 a126, v4
	v_fma_f64 v[4:5], s[12:13], v[158:159], v[4:5]
	v_add_f64 v[8:9], v[0:1], v[4:5]
	v_fma_f64 v[4:5], v[160:161], s[12:13], -v[6:7]
	v_fma_f64 v[16:17], s[20:21], v[10:11], v[14:15]
	v_add_f64 v[10:11], v[2:3], v[4:5]
	v_mul_f64 v[4:5], v[238:239], s[34:35]
	v_mul_f64 v[12:13], v[234:235], s[34:35]
	v_accvgpr_write_b32 a131, v5
	v_accvgpr_write_b32 a129, v7
	;; [unrolled: 1-line block ×3, first 2 shown]
	v_fma_f64 v[4:5], s[16:17], v[158:159], v[4:5]
	v_accvgpr_write_b32 a135, v13
	v_add_f64 v[250:251], v[172:173], -v[62:63]
	v_accvgpr_write_b32 a128, v6
	v_add_f64 v[6:7], v[0:1], v[4:5]
	v_accvgpr_write_b32 a134, v12
	v_fma_f64 v[4:5], v[160:161], s[16:17], -v[12:13]
	v_mul_f64 v[12:13], v[250:251], s[34:35]
	v_add_f64 v[166:167], v[170:171], v[60:61]
	v_add_f64 v[240:241], v[170:171], -v[60:61]
	v_accvgpr_write_b32 a133, v13
	v_add_f64 v[168:169], v[172:173], v[62:63]
	v_mul_f64 v[14:15], v[240:241], s[34:35]
	v_accvgpr_write_b32 a132, v12
	v_fma_f64 v[12:13], s[16:17], v[166:167], v[12:13]
	v_add_f64 v[8:9], v[12:13], v[8:9]
	v_fma_f64 v[12:13], v[168:169], s[16:17], -v[14:15]
	v_add_f64 v[144:145], v[176:177], -v[58:59]
	v_accvgpr_write_b32 a34, v170
	v_add_f64 v[10:11], v[12:13], v[10:11]
	v_mul_f64 v[12:13], v[144:145], s[38:39]
	v_accvgpr_write_b32 a35, v171
	v_accvgpr_write_b32 a36, v172
	v_accvgpr_write_b32 a37, v173
	v_accvgpr_write_b32 a137, v15
	v_add_f64 v[170:171], v[174:175], v[56:57]
	v_add_f64 v[252:253], v[174:175], -v[56:57]
	v_accvgpr_write_b32 a141, v13
	v_accvgpr_write_b32 a136, v14
	v_add_f64 v[172:173], v[176:177], v[58:59]
	v_mul_f64 v[14:15], v[252:253], s[38:39]
	v_accvgpr_write_b32 a140, v12
	v_fma_f64 v[12:13], s[14:15], v[170:171], v[12:13]
	v_add_f64 v[8:9], v[12:13], v[8:9]
	v_fma_f64 v[12:13], v[172:173], s[14:15], -v[14:15]
	v_add_f64 v[162:163], v[184:185], -v[54:55]
	v_add_f64 v[10:11], v[12:13], v[10:11]
	v_mul_f64 v[12:13], v[162:163], s[30:31]
	v_add_f64 v[130:131], v[16:17], v[148:149]
	v_accvgpr_write_b32 a143, v15
	v_add_f64 v[178:179], v[182:183], v[52:53]
	v_add_f64 v[148:149], v[182:183], -v[52:53]
	v_accvgpr_write_b32 a145, v13
	v_accvgpr_write_b32 a142, v14
	v_add_f64 v[180:181], v[184:185], v[54:55]
	v_mul_f64 v[14:15], v[148:149], s[30:31]
	v_accvgpr_write_b32 a144, v12
	v_fma_f64 v[12:13], s[20:21], v[178:179], v[12:13]
	v_add_f64 v[8:9], v[12:13], v[8:9]
	v_fma_f64 v[12:13], v[180:181], s[20:21], -v[14:15]
	v_add_f64 v[198:199], v[194:195], -v[50:51]
	v_accvgpr_write_b32 a38, v174
	v_add_f64 v[10:11], v[12:13], v[10:11]
	v_mul_f64 v[12:13], v[198:199], s[36:37]
	v_accvgpr_write_b32 a39, v175
	v_accvgpr_write_b32 a40, v176
	v_accvgpr_write_b32 a41, v177
	v_accvgpr_write_b32 a147, v15
	v_add_f64 v[188:189], v[192:193], v[48:49]
	v_add_f64 v[174:175], v[192:193], -v[48:49]
	v_accvgpr_write_b32 a149, v13
	v_accvgpr_write_b32 a146, v14
	v_add_f64 v[190:191], v[194:195], v[50:51]
	v_mul_f64 v[14:15], v[174:175], s[36:37]
	v_accvgpr_write_b32 a148, v12
	v_fma_f64 v[12:13], s[18:19], v[188:189], v[12:13]
	v_add_f64 v[8:9], v[12:13], v[8:9]
	v_fma_f64 v[12:13], v[190:191], s[18:19], -v[14:15]
	v_add_f64 v[228:229], v[202:203], -v[46:47]
	v_accvgpr_write_b32 a106, v192
	v_add_f64 v[10:11], v[12:13], v[10:11]
	v_mul_f64 v[12:13], v[228:229], s[40:41]
	v_accvgpr_write_b32 a107, v193
	v_accvgpr_write_b32 a108, v194
	v_accvgpr_write_b32 a109, v195
	;; [unrolled: 18-line block ×3, first 2 shown]
	v_accvgpr_write_b32 a155, v15
	v_add_f64 v[202:203], v[206:207], v[40:41]
	v_add_f64 v[242:243], v[206:207], -v[40:41]
	v_accvgpr_write_b32 a157, v13
	v_accvgpr_write_b32 a154, v14
	v_add_f64 v[204:205], v[208:209], v[42:43]
	v_mul_f64 v[14:15], v[242:243], s[42:43]
	v_accvgpr_write_b32 a156, v12
	v_fma_f64 v[12:13], s[24:25], v[202:203], v[12:13]
	v_add_f64 v[8:9], v[12:13], v[8:9]
	v_fma_f64 v[12:13], v[204:205], s[24:25], -v[14:15]
	v_add_f64 v[152:153], v[222:223], -v[38:39]
	v_add_f64 v[10:11], v[12:13], v[10:11]
	v_mul_f64 v[12:13], v[152:153], s[44:45]
	v_accvgpr_write_b32 a159, v15
	v_add_f64 v[212:213], v[220:221], v[36:37]
	v_add_f64 v[142:143], v[220:221], -v[36:37]
	v_accvgpr_write_b32 a161, v13
	v_accvgpr_write_b32 a158, v14
	v_add_f64 v[216:217], v[222:223], v[38:39]
	v_mul_f64 v[14:15], v[142:143], s[44:45]
	v_accvgpr_write_b32 a160, v12
	v_fma_f64 v[12:13], s[26:27], v[212:213], v[12:13]
	v_mul_f64 v[16:17], v[250:251], s[30:31]
	v_add_f64 v[12:13], v[12:13], v[8:9]
	v_accvgpr_write_b32 a163, v15
	v_fma_f64 v[8:9], v[216:217], s[26:27], -v[14:15]
	v_accvgpr_write_b32 a162, v14
	v_add_f64 v[14:15], v[8:9], v[10:11]
	v_mul_f64 v[10:11], v[240:241], s[30:31]
	v_fma_f64 v[8:9], s[20:21], v[166:167], v[16:17]
	v_add_f64 v[4:5], v[2:3], v[4:5]
	v_add_f64 v[6:7], v[8:9], v[6:7]
	v_fma_f64 v[8:9], v[168:169], s[20:21], -v[10:11]
	v_add_f64 v[4:5], v[8:9], v[4:5]
	v_mul_f64 v[8:9], v[144:145], s[40:41]
	v_accvgpr_write_b32 a165, v9
	v_accvgpr_write_b32 a164, v8
	v_fma_f64 v[8:9], s[22:23], v[170:171], v[8:9]
	v_add_f64 v[6:7], v[8:9], v[6:7]
	v_mul_f64 v[8:9], v[252:253], s[40:41]
	v_accvgpr_write_b32 a173, v9
	v_accvgpr_write_b32 a172, v8
	v_fma_f64 v[8:9], v[172:173], s[22:23], -v[8:9]
	v_add_f64 v[4:5], v[8:9], v[4:5]
	v_mul_f64 v[8:9], v[162:163], s[44:45]
	v_accvgpr_write_b32 a169, v9
	v_accvgpr_write_b32 a168, v8
	v_fma_f64 v[8:9], s[26:27], v[178:179], v[8:9]
	v_add_f64 v[6:7], v[8:9], v[6:7]
	v_mul_f64 v[8:9], v[148:149], s[44:45]
	v_accvgpr_write_b32 a177, v9
	v_accvgpr_write_b32 a176, v8
	;; [unrolled: 10-line block ×6, first 2 shown]
	v_accvgpr_write_b32 a188, v6
	v_fma_f64 v[6:7], v[216:217], s[12:13], -v[6:7]
	v_accvgpr_write_b32 a166, v10
	v_add_f64 v[10:11], v[6:7], v[4:5]
	v_mul_f64 v[4:5], v[238:239], s[38:39]
	v_accvgpr_write_b32 a191, v5
	v_mul_f64 v[6:7], v[250:251], s[40:41]
	v_accvgpr_write_b32 a190, v4
	v_fma_f64 v[4:5], s[14:15], v[158:159], v[4:5]
	v_accvgpr_write_b32 a193, v7
	v_add_f64 v[4:5], v[0:1], v[4:5]
	v_accvgpr_write_b32 a192, v6
	v_fma_f64 v[6:7], s[22:23], v[166:167], v[6:7]
	v_accvgpr_write_b32 a81, v11
	v_add_f64 v[4:5], v[6:7], v[4:5]
	v_mul_f64 v[6:7], v[234:235], s[38:39]
	v_accvgpr_write_b32 a80, v10
	v_accvgpr_write_b32 a79, v9
	v_accvgpr_write_b32 a78, v8
	v_accvgpr_write_b32 a207, v7
	v_mul_f64 v[8:9], v[240:241], s[40:41]
	v_accvgpr_write_b32 a206, v6
	v_fma_f64 v[6:7], v[160:161], s[14:15], -v[6:7]
	v_accvgpr_write_b32 a209, v9
	v_add_f64 v[6:7], v[2:3], v[6:7]
	v_accvgpr_write_b32 a208, v8
	v_fma_f64 v[8:9], v[168:169], s[22:23], -v[8:9]
	v_add_f64 v[6:7], v[8:9], v[6:7]
	v_mul_f64 v[8:9], v[144:145], s[56:57]
	v_accvgpr_write_b32 a195, v9
	v_accvgpr_write_b32 a194, v8
	v_fma_f64 v[8:9], s[26:27], v[170:171], v[8:9]
	v_add_f64 v[4:5], v[8:9], v[4:5]
	v_mul_f64 v[8:9], v[252:253], s[56:57]
	v_accvgpr_write_b32 a211, v9
	v_accvgpr_write_b32 a210, v8
	v_fma_f64 v[8:9], v[172:173], s[26:27], -v[8:9]
	v_add_f64 v[6:7], v[8:9], v[6:7]
	v_mul_f64 v[8:9], v[162:163], s[52:53]
	v_accvgpr_write_b32 a197, v9
	v_accvgpr_write_b32 a196, v8
	v_fma_f64 v[8:9], s[18:19], v[178:179], v[8:9]
	v_add_f64 v[4:5], v[8:9], v[4:5]
	v_mul_f64 v[8:9], v[148:149], s[52:53]
	v_accvgpr_write_b32 a213, v9
	;; [unrolled: 10-line block ×6, first 2 shown]
	v_accvgpr_write_b32 a220, v4
	v_fma_f64 v[4:5], v[216:217], s[24:25], -v[4:5]
	v_add_f64 v[10:11], v[4:5], v[6:7]
	v_mul_f64 v[4:5], v[238:239], s[30:31]
	v_accvgpr_write_b32 a223, v5
	v_mul_f64 v[6:7], v[250:251], s[44:45]
	v_accvgpr_write_b32 a222, v4
	v_fma_f64 v[4:5], s[20:21], v[158:159], v[4:5]
	v_accvgpr_write_b32 a225, v7
	v_add_f64 v[4:5], v[0:1], v[4:5]
	v_accvgpr_write_b32 a224, v6
	v_fma_f64 v[6:7], s[26:27], v[166:167], v[6:7]
	v_accvgpr_write_b32 a85, v11
	v_add_f64 v[4:5], v[6:7], v[4:5]
	v_mul_f64 v[6:7], v[234:235], s[30:31]
	v_accvgpr_write_b32 a84, v10
	v_accvgpr_write_b32 a83, v9
	;; [unrolled: 1-line block ×4, first 2 shown]
	v_mul_f64 v[8:9], v[240:241], s[44:45]
	v_accvgpr_write_b32 a230, v6
	v_fma_f64 v[6:7], v[160:161], s[20:21], -v[6:7]
	v_accvgpr_write_b32 a235, v9
	v_add_f64 v[6:7], v[2:3], v[6:7]
	v_accvgpr_write_b32 a234, v8
	v_fma_f64 v[8:9], v[168:169], s[26:27], -v[8:9]
	v_add_f64 v[6:7], v[8:9], v[6:7]
	v_mul_f64 v[8:9], v[144:145], s[52:53]
	v_accvgpr_write_b32 a227, v9
	v_accvgpr_write_b32 a226, v8
	v_fma_f64 v[8:9], s[18:19], v[170:171], v[8:9]
	v_add_f64 v[4:5], v[8:9], v[4:5]
	v_mul_f64 v[8:9], v[252:253], s[52:53]
	v_accvgpr_write_b32 a239, v9
	v_accvgpr_write_b32 a238, v8
	v_fma_f64 v[8:9], v[172:173], s[18:19], -v[8:9]
	v_add_f64 v[6:7], v[8:9], v[6:7]
	v_mul_f64 v[8:9], v[162:163], s[48:49]
	v_accvgpr_write_b32 a229, v9
	v_accvgpr_write_b32 a228, v8
	v_fma_f64 v[8:9], s[12:13], v[178:179], v[8:9]
	v_add_f64 v[4:5], v[8:9], v[4:5]
	v_mul_f64 v[8:9], v[148:149], s[48:49]
	v_accvgpr_write_b32 a243, v9
	;; [unrolled: 10-line block ×6, first 2 shown]
	v_accvgpr_write_b32 a252, v4
	v_fma_f64 v[4:5], v[216:217], s[16:17], -v[4:5]
	v_add_f64 v[10:11], v[4:5], v[6:7]
	v_mul_f64 v[4:5], v[238:239], s[36:37]
	v_accvgpr_write_b32 a255, v5
	v_mul_f64 v[6:7], v[250:251], s[50:51]
	v_accvgpr_write_b32 a254, v4
	v_fma_f64 v[4:5], s[18:19], v[158:159], v[4:5]
	v_accvgpr_write_b32 a0, v6
	v_add_f64 v[4:5], v[0:1], v[4:5]
	v_accvgpr_write_b32 a1, v7
	v_fma_f64 v[6:7], s[24:25], v[166:167], v[6:7]
	v_accvgpr_write_b32 a89, v11
	v_add_f64 v[4:5], v[6:7], v[4:5]
	v_mul_f64 v[6:7], v[234:235], s[36:37]
	v_accvgpr_write_b32 a88, v10
	v_accvgpr_write_b32 a87, v9
	;; [unrolled: 1-line block ×4, first 2 shown]
	v_mul_f64 v[8:9], v[240:241], s[50:51]
	v_accvgpr_write_b32 a18, v6
	v_fma_f64 v[6:7], v[160:161], s[18:19], -v[6:7]
	v_accvgpr_write_b32 a31, v9
	v_add_f64 v[6:7], v[2:3], v[6:7]
	v_accvgpr_write_b32 a30, v8
	v_fma_f64 v[8:9], v[168:169], s[24:25], -v[8:9]
	v_add_f64 v[6:7], v[8:9], v[6:7]
	v_mul_f64 v[8:9], v[144:145], s[54:55]
	v_accvgpr_write_b32 a55, v9
	v_accvgpr_write_b32 a54, v8
	v_fma_f64 v[8:9], s[16:17], v[170:171], v[8:9]
	v_mul_f64 v[146:147], v[252:253], s[54:55]
	v_add_f64 v[4:5], v[8:9], v[4:5]
	v_fma_f64 v[8:9], v[172:173], s[16:17], -v[146:147]
	v_add_f64 v[6:7], v[8:9], v[6:7]
	v_mul_f64 v[8:9], v[162:163], s[38:39]
	v_accvgpr_write_b32 a57, v9
	v_accvgpr_write_b32 a56, v8
	v_fma_f64 v[8:9], s[14:15], v[178:179], v[8:9]
	v_mul_f64 v[154:155], v[148:149], s[38:39]
	v_add_f64 v[4:5], v[8:9], v[4:5]
	;; [unrolled: 8-line block ×3, first 2 shown]
	v_fma_f64 v[8:9], v[190:191], s[26:27], -v[164:165]
	v_mul_f64 v[140:141], v[228:229], s[60:61]
	v_add_f64 v[6:7], v[8:9], v[6:7]
	v_fma_f64 v[8:9], s[20:21], v[194:195], v[140:141]
	v_mul_f64 v[176:177], v[218:219], s[60:61]
	v_accvgpr_write_b32 a102, v182
	v_add_f64 v[4:5], v[8:9], v[4:5]
	v_fma_f64 v[8:9], v[196:197], s[20:21], -v[176:177]
	v_mul_f64 v[150:151], v[68:69], s[28:29]
	v_accvgpr_write_b32 a103, v183
	v_accvgpr_write_b32 a104, v184
	;; [unrolled: 1-line block ×3, first 2 shown]
	v_add_f64 v[6:7], v[8:9], v[6:7]
	v_fma_f64 v[8:9], s[12:13], v[202:203], v[150:151]
	v_mul_f64 v[182:183], v[242:243], s[28:29]
	v_add_f64 v[4:5], v[8:9], v[4:5]
	v_fma_f64 v[8:9], v[204:205], s[12:13], -v[182:183]
	v_mul_f64 v[156:157], v[152:153], s[40:41]
	v_add_f64 v[6:7], v[8:9], v[6:7]
	v_fma_f64 v[8:9], s[22:23], v[212:213], v[156:157]
	v_mul_f64 v[70:71], v[142:143], s[40:41]
	v_add_f64 v[8:9], v[8:9], v[4:5]
	v_fma_f64 v[4:5], v[216:217], s[22:23], -v[70:71]
	v_mul_f64 v[184:185], v[238:239], s[40:41]
	v_accvgpr_write_b32 a114, v206
	v_add_f64 v[10:11], v[4:5], v[6:7]
	v_fma_f64 v[4:5], s[22:23], v[158:159], v[184:185]
	v_mul_f64 v[192:193], v[250:251], s[52:53]
	v_accvgpr_write_b32 a115, v207
	v_accvgpr_write_b32 a116, v208
	;; [unrolled: 1-line block ×3, first 2 shown]
	v_add_f64 v[4:5], v[0:1], v[4:5]
	v_fma_f64 v[6:7], s[18:19], v[166:167], v[192:193]
	v_mul_f64 v[208:209], v[234:235], s[40:41]
	v_accvgpr_write_b32 a93, v11
	v_add_f64 v[4:5], v[6:7], v[4:5]
	v_fma_f64 v[6:7], v[160:161], s[22:23], -v[208:209]
	v_mul_f64 v[214:215], v[240:241], s[52:53]
	v_accvgpr_write_b32 a118, v220
	v_accvgpr_write_b32 a92, v10
	;; [unrolled: 1-line block ×4, first 2 shown]
	v_add_f64 v[6:7], v[2:3], v[6:7]
	v_fma_f64 v[8:9], v[168:169], s[18:19], -v[214:215]
	v_mul_f64 v[200:201], v[144:145], s[28:29]
	v_accvgpr_write_b32 a119, v221
	v_accvgpr_write_b32 a120, v222
	;; [unrolled: 1-line block ×3, first 2 shown]
	v_add_f64 v[6:7], v[8:9], v[6:7]
	v_fma_f64 v[8:9], s[12:13], v[170:171], v[200:201]
	v_mul_f64 v[222:223], v[252:253], s[28:29]
	v_add_f64 v[4:5], v[8:9], v[4:5]
	v_fma_f64 v[8:9], v[172:173], s[12:13], -v[222:223]
	v_mul_f64 v[206:207], v[162:163], s[42:43]
	v_add_f64 v[6:7], v[8:9], v[6:7]
	v_fma_f64 v[8:9], s[24:25], v[178:179], v[206:207]
	v_mul_f64 v[226:227], v[148:149], s[42:43]
	v_add_f64 v[4:5], v[8:9], v[4:5]
	v_fma_f64 v[8:9], v[180:181], s[24:25], -v[226:227]
	v_mul_f64 v[210:211], v[198:199], s[60:61]
	;; [unrolled: 6-line block ×6, first 2 shown]
	v_add_f64 v[10:11], v[4:5], v[6:7]
	v_fma_f64 v[4:5], s[24:25], v[158:159], v[248:249]
	v_accvgpr_write_b32 a97, v11
	v_add_f64 v[6:7], v[0:1], v[4:5]
	v_mul_f64 v[4:5], v[250:251], s[46:47]
	v_accvgpr_write_b32 a77, v15
	v_accvgpr_write_b32 a96, v10
	;; [unrolled: 1-line block ×4, first 2 shown]
	v_fma_f64 v[8:9], s[14:15], v[166:167], v[4:5]
	v_mul_f64 v[10:11], v[234:235], s[42:43]
	v_accvgpr_write_b32 a76, v14
	v_accvgpr_write_b32 a75, v13
	v_accvgpr_write_b32 a74, v12
	v_add_f64 v[8:9], v[8:9], v[6:7]
	v_fma_f64 v[6:7], v[160:161], s[24:25], -v[10:11]
	v_mul_f64 v[12:13], v[240:241], s[46:47]
	v_add_f64 v[6:7], v[2:3], v[6:7]
	v_fma_f64 v[14:15], v[168:169], s[14:15], -v[12:13]
	v_accvgpr_write_b32 a139, v17
	v_add_f64 v[14:15], v[14:15], v[6:7]
	v_mul_f64 v[6:7], v[144:145], s[30:31]
	v_accvgpr_write_b32 a138, v16
	v_fma_f64 v[16:17], s[20:21], v[170:171], v[6:7]
	v_add_f64 v[18:19], v[16:17], v[8:9]
	v_mul_f64 v[16:17], v[252:253], s[30:31]
	v_fma_f64 v[8:9], v[172:173], s[20:21], -v[16:17]
	v_add_f64 v[14:15], v[8:9], v[14:15]
	v_mul_f64 v[8:9], v[162:163], s[58:59]
	v_fma_f64 v[20:21], s[22:23], v[178:179], v[8:9]
	v_add_f64 v[18:19], v[20:21], v[18:19]
	v_mul_f64 v[20:21], v[148:149], s[58:59]
	v_fma_f64 v[22:23], v[180:181], s[22:23], -v[20:21]
	v_mul_f64 v[254:255], v[198:199], s[28:29]
	v_add_f64 v[14:15], v[22:23], v[14:15]
	v_fma_f64 v[22:23], s[12:13], v[188:189], v[254:255]
	v_mul_f64 v[136:137], v[174:175], s[28:29]
	v_add_f64 v[18:19], v[22:23], v[18:19]
	v_fma_f64 v[22:23], v[190:191], s[12:13], -v[136:137]
	v_add_f64 v[22:23], v[22:23], v[14:15]
	v_mul_f64 v[14:15], v[228:229], s[44:45]
	v_fma_f64 v[24:25], s[26:27], v[194:195], v[14:15]
	v_mul_f64 v[186:187], v[218:219], s[44:45]
	v_add_f64 v[24:25], v[24:25], v[18:19]
	v_fma_f64 v[18:19], v[196:197], s[26:27], -v[186:187]
	v_add_f64 v[22:23], v[18:19], v[22:23]
	v_mul_f64 v[18:19], v[68:69], s[54:55]
	v_fma_f64 v[26:27], s[16:17], v[202:203], v[18:19]
	v_add_f64 v[26:27], v[26:27], v[24:25]
	v_mul_f64 v[24:25], v[242:243], s[54:55]
	v_fma_f64 v[30:31], v[204:205], s[16:17], -v[24:25]
	v_add_f64 v[30:31], v[30:31], v[22:23]
	v_mul_f64 v[22:23], v[152:153], s[36:37]
	v_accvgpr_write_b32 a22, v32
	v_fma_f64 v[138:139], s[18:19], v[212:213], v[22:23]
	v_accvgpr_write_b32 a23, v33
	v_accvgpr_write_b32 a24, v34
	;; [unrolled: 1-line block ×3, first 2 shown]
	v_add_f64 v[32:33], v[138:139], v[26:27]
	v_mul_f64 v[26:27], v[142:143], s[36:37]
	v_fma_f64 v[138:139], v[216:217], s[18:19], -v[26:27]
	v_add_f64 v[34:35], v[138:139], v[30:31]
	v_accvgpr_read_b32 v138, a2
	v_mul_lo_u16_e32 v30, 17, v138
	v_lshlrev_b32_e32 v237, 4, v30
	v_accvgpr_write_b32 a101, v35
	s_waitcnt lgkmcnt(0)
	; wave barrier
	ds_write_b128 v237, a[122:125]
	ds_write_b128 v237, v[84:87] offset:16
	ds_write_b128 v237, v[92:95] offset:32
	;; [unrolled: 1-line block ×16, first 2 shown]
	v_add_co_u32_e64 v108, s[0:1], 51, v138
	v_accvgpr_write_b32 a100, v34
	v_accvgpr_write_b32 a99, v33
	;; [unrolled: 1-line block ×3, first 2 shown]
	v_mul_u32_u24_e32 v30, 17, v108
	buffer_store_dword v30, off, s[64:67], 0 offset:96 ; 4-byte Folded Spill
	s_and_saveexec_b64 s[0:1], vcc
	s_cbranch_execz .LBB0_7
; %bb.6:
	v_mul_f64 v[30:31], v[160:161], s[26:27]
	v_fma_f64 v[72:73], s[56:57], v[234:235], v[30:31]
	v_mul_f64 v[74:75], v[168:169], s[12:13]
	v_add_f64 v[72:73], v[2:3], v[72:73]
	v_fma_f64 v[76:77], s[28:29], v[240:241], v[74:75]
	v_add_f64 v[72:73], v[76:77], v[72:73]
	v_mul_f64 v[76:77], v[172:173], s[24:25]
	v_fma_f64 v[78:79], s[50:51], v[252:253], v[76:77]
	v_add_f64 v[72:73], v[78:79], v[72:73]
	v_mul_f64 v[78:79], v[180:181], s[16:17]
	;; [unrolled: 3-line block ×4, first 2 shown]
	v_fma_f64 v[84:85], s[38:39], v[218:219], v[82:83]
	v_fmac_f64_e32 v[30:31], s[44:45], v[234:235]
	v_add_f64 v[72:73], v[84:85], v[72:73]
	v_mul_f64 v[84:85], v[204:205], s[18:19]
	v_fmac_f64_e32 v[74:75], s[48:49], v[240:241]
	v_add_f64 v[30:31], v[2:3], v[30:31]
	v_fma_f64 v[86:87], s[52:53], v[242:243], v[84:85]
	v_mul_f64 v[88:89], v[238:239], s[44:45]
	v_fmac_f64_e32 v[76:77], s[42:43], v[252:253]
	v_add_f64 v[30:31], v[74:75], v[30:31]
	v_add_f64 v[72:73], v[86:87], v[72:73]
	v_mul_f64 v[86:87], v[250:251], s[48:49]
	v_add_f64 v[30:31], v[76:77], v[30:31]
	v_fma_f64 v[76:77], v[158:159], s[26:27], -v[88:89]
	v_mul_f64 v[96:97], v[144:145], s[42:43]
	v_fma_f64 v[74:75], v[166:167], s[12:13], -v[86:87]
	v_add_f64 v[76:77], v[0:1], v[76:77]
	v_mul_f64 v[98:99], v[162:163], s[54:55]
	v_add_f64 v[74:75], v[74:75], v[76:77]
	v_fma_f64 v[76:77], v[170:171], s[24:25], -v[96:97]
	v_mul_f64 v[100:101], v[198:199], s[40:41]
	v_add_f64 v[74:75], v[76:77], v[74:75]
	v_fma_f64 v[76:77], v[178:179], s[16:17], -v[98:99]
	;; [unrolled: 3-line block ×3, first 2 shown]
	v_add_f64 v[74:75], v[76:77], v[74:75]
	v_fma_f64 v[76:77], v[194:195], s[14:15], -v[102:103]
	v_add_f64 v[74:75], v[76:77], v[74:75]
	v_mul_f64 v[76:77], v[180:181], s[22:23]
	v_add_f64 v[20:21], v[20:21], v[76:77]
	v_mul_f64 v[76:77], v[172:173], s[20:21]
	;; [unrolled: 2-line block ×4, first 2 shown]
	v_add_f64 v[10:11], v[10:11], v[76:77]
	v_add_f64 v[10:11], v[2:3], v[10:11]
	;; [unrolled: 1-line block ×4, first 2 shown]
	v_fma_f64 v[90:91], s[26:27], v[158:159], v[88:89]
	v_add_f64 v[10:11], v[20:21], v[10:11]
	v_mul_f64 v[20:21], v[178:179], s[22:23]
	v_add_f64 v[90:91], v[0:1], v[90:91]
	v_fma_f64 v[92:93], s[12:13], v[166:167], v[86:87]
	v_add_f64 v[8:9], v[20:21], -v[8:9]
	v_mul_f64 v[20:21], v[170:171], s[20:21]
	v_add_f64 v[90:91], v[92:93], v[90:91]
	v_fma_f64 v[92:93], s[24:25], v[170:171], v[96:97]
	v_add_f64 v[6:7], v[20:21], -v[6:7]
	;; [unrolled: 4-line block ×3, first 2 shown]
	v_mul_f64 v[20:21], v[158:159], s[24:25]
	v_add_f64 v[90:91], v[92:93], v[90:91]
	v_fma_f64 v[92:93], s[22:23], v[188:189], v[100:101]
	v_fmac_f64_e32 v[78:79], s[54:55], v[148:149]
	v_add_f64 v[20:21], v[20:21], -v[248:249]
	v_add_f64 v[90:91], v[92:93], v[90:91]
	v_fma_f64 v[92:93], s[14:15], v[194:195], v[102:103]
	v_mul_f64 v[68:69], v[68:69], s[36:37]
	v_fmac_f64_e32 v[80:81], s[40:41], v[174:175]
	v_add_f64 v[30:31], v[78:79], v[30:31]
	v_mul_f64 v[16:17], v[202:203], s[16:17]
	v_add_f64 v[20:21], v[0:1], v[20:21]
	v_add_f64 v[90:91], v[92:93], v[90:91]
	v_fma_f64 v[92:93], s[18:19], v[202:203], v[68:69]
	v_mul_f64 v[104:105], v[216:217], s[20:21]
	v_fmac_f64_e32 v[82:83], s[46:47], v[218:219]
	v_add_f64 v[30:31], v[80:81], v[30:31]
	v_add_f64 v[16:17], v[16:17], -v[18:19]
	v_mul_f64 v[18:19], v[194:195], s[26:27]
	v_add_f64 v[4:5], v[4:5], v[20:21]
	v_add_f64 v[90:91], v[92:93], v[90:91]
	v_fma_f64 v[92:93], s[30:31], v[142:143], v[104:105]
	v_fmac_f64_e32 v[84:85], s[36:37], v[242:243]
	v_add_f64 v[30:31], v[82:83], v[30:31]
	v_add_f64 v[14:15], v[18:19], -v[14:15]
	v_mul_f64 v[18:19], v[188:189], s[12:13]
	v_add_f64 v[4:5], v[6:7], v[4:5]
	v_add_f64 v[94:95], v[92:93], v[72:73]
	v_mul_f64 v[72:73], v[152:153], s[60:61]
	v_fmac_f64_e32 v[104:105], s[60:61], v[142:143]
	v_add_f64 v[30:31], v[84:85], v[30:31]
	v_fma_f64 v[68:69], v[202:203], s[18:19], -v[68:69]
	v_add_f64 v[18:19], v[18:19], -v[254:255]
	v_add_f64 v[4:5], v[8:9], v[4:5]
	v_add_f64 v[68:69], v[68:69], v[74:75]
	;; [unrolled: 1-line block ×3, first 2 shown]
	v_fma_f64 v[30:31], v[212:213], s[20:21], -v[72:73]
	v_add_f64 v[4:5], v[18:19], v[4:5]
	v_fma_f64 v[92:93], s[20:21], v[212:213], v[72:73]
	v_add_f64 v[72:73], v[30:31], v[68:69]
	v_mul_f64 v[30:31], v[216:217], s[18:19]
	v_mul_f64 v[12:13], v[212:213], s[18:19]
	v_add_f64 v[4:5], v[14:15], v[4:5]
	v_mul_f64 v[18:19], v[160:161], s[22:23]
	v_add_f64 v[26:27], v[26:27], v[30:31]
	v_mul_f64 v[30:31], v[204:205], s[16:17]
	v_mul_f64 v[68:69], v[190:191], s[12:13]
	v_add_f64 v[12:13], v[12:13], -v[22:23]
	v_add_f64 v[4:5], v[16:17], v[4:5]
	v_mul_f64 v[16:17], v[168:169], s[18:19]
	v_add_f64 v[18:19], v[208:209], v[18:19]
	v_mul_f64 v[22:23], v[158:159], s[22:23]
	;; [unrolled: 2-line block ×4, first 2 shown]
	v_add_f64 v[16:17], v[214:215], v[16:17]
	v_add_f64 v[18:19], v[2:3], v[18:19]
	v_mul_f64 v[20:21], v[166:167], s[18:19]
	v_add_f64 v[22:23], v[22:23], -v[184:185]
	v_add_f64 v[30:31], v[186:187], v[30:31]
	v_add_f64 v[10:11], v[68:69], v[10:11]
	;; [unrolled: 1-line block ×3, first 2 shown]
	v_mul_f64 v[12:13], v[180:181], s[24:25]
	v_add_f64 v[14:15], v[222:223], v[14:15]
	v_add_f64 v[16:17], v[16:17], v[18:19]
	v_mul_f64 v[18:19], v[170:171], s[12:13]
	v_add_f64 v[20:21], v[20:21], -v[192:193]
	v_add_f64 v[22:23], v[0:1], v[22:23]
	v_add_f64 v[10:11], v[30:31], v[10:11]
	;; [unrolled: 1-line block ×4, first 2 shown]
	v_mul_f64 v[16:17], v[178:179], s[24:25]
	v_add_f64 v[18:19], v[18:19], -v[200:201]
	v_add_f64 v[20:21], v[20:21], v[22:23]
	v_add_f64 v[10:11], v[24:25], v[10:11]
	;; [unrolled: 1-line block ×3, first 2 shown]
	v_mul_f64 v[14:15], v[188:189], s[20:21]
	v_add_f64 v[16:17], v[16:17], -v[206:207]
	v_add_f64 v[18:19], v[18:19], v[20:21]
	v_add_f64 v[78:79], v[26:27], v[10:11]
	v_mul_f64 v[10:11], v[190:191], s[20:21]
	v_add_f64 v[14:15], v[14:15], -v[210:211]
	v_add_f64 v[16:17], v[16:17], v[18:19]
	v_accvgpr_read_b32 v18, a30
	v_mul_f64 v[8:9], v[196:197], s[16:17]
	v_add_f64 v[10:11], v[232:233], v[10:11]
	v_add_f64 v[14:15], v[14:15], v[16:17]
	v_mul_f64 v[16:17], v[168:169], s[24:25]
	v_accvgpr_read_b32 v19, a31
	v_accvgpr_read_b32 v21, a19
	v_add_f64 v[8:9], v[28:29], v[8:9]
	v_add_f64 v[10:11], v[10:11], v[12:13]
	v_mul_f64 v[12:13], v[194:195], s[16:17]
	v_add_f64 v[16:17], v[18:19], v[16:17]
	v_mul_f64 v[18:19], v[160:161], s[18:19]
	v_accvgpr_read_b32 v20, a18
	v_add_f64 v[8:9], v[8:9], v[10:11]
	v_mul_f64 v[10:11], v[202:203], s[26:27]
	v_add_f64 v[12:13], v[12:13], -v[220:221]
	v_add_f64 v[18:19], v[20:21], v[18:19]
	v_add_f64 v[10:11], v[10:11], -v[224:225]
	v_add_f64 v[12:13], v[12:13], v[14:15]
	v_mul_f64 v[14:15], v[172:173], s[16:17]
	v_add_f64 v[18:19], v[2:3], v[18:19]
	v_add_f64 v[10:11], v[10:11], v[12:13]
	v_mul_f64 v[12:13], v[180:181], s[14:15]
	v_add_f64 v[14:15], v[146:147], v[14:15]
	v_add_f64 v[16:17], v[16:17], v[18:19]
	;; [unrolled: 1-line block ×4, first 2 shown]
	v_accvgpr_read_b32 v16, a20
	v_add_f64 v[12:13], v[12:13], v[14:15]
	v_mul_f64 v[14:15], v[188:189], s[26:27]
	v_accvgpr_read_b32 v17, a21
	v_accvgpr_read_b32 v18, a56
	v_add_f64 v[14:15], v[14:15], -v[16:17]
	v_mul_f64 v[16:17], v[178:179], s[14:15]
	v_accvgpr_read_b32 v19, a57
	v_accvgpr_read_b32 v20, a54
	v_add_f64 v[16:17], v[16:17], -v[18:19]
	v_mul_f64 v[18:19], v[170:171], s[16:17]
	v_accvgpr_read_b32 v21, a55
	v_accvgpr_read_b32 v23, a1
	v_mul_f64 v[6:7], v[204:205], s[26:27]
	v_add_f64 v[18:19], v[18:19], -v[20:21]
	v_mul_f64 v[20:21], v[166:167], s[24:25]
	v_accvgpr_read_b32 v22, a0
	v_accvgpr_read_b32 v24, a254
	v_add_f64 v[6:7], v[244:245], v[6:7]
	v_add_f64 v[20:21], v[20:21], -v[22:23]
	v_mul_f64 v[22:23], v[158:159], s[18:19]
	v_accvgpr_read_b32 v25, a255
	v_add_f64 v[6:7], v[6:7], v[8:9]
	v_mul_f64 v[8:9], v[212:213], s[14:15]
	v_add_f64 v[22:23], v[22:23], -v[24:25]
	v_add_f64 v[8:9], v[8:9], -v[230:231]
	v_add_f64 v[22:23], v[0:1], v[22:23]
	v_mul_f64 v[4:5], v[216:217], s[14:15]
	v_add_f64 v[80:81], v[8:9], v[10:11]
	v_mul_f64 v[10:11], v[190:191], s[26:27]
	v_add_f64 v[20:21], v[20:21], v[22:23]
	v_add_f64 v[4:5], v[246:247], v[4:5]
	v_mul_f64 v[8:9], v[196:197], s[20:21]
	v_add_f64 v[10:11], v[164:165], v[10:11]
	v_add_f64 v[18:19], v[18:19], v[20:21]
	;; [unrolled: 1-line block ×3, first 2 shown]
	v_mul_f64 v[6:7], v[204:205], s[12:13]
	v_add_f64 v[8:9], v[176:177], v[8:9]
	v_add_f64 v[10:11], v[10:11], v[12:13]
	v_mul_f64 v[12:13], v[194:195], s[20:21]
	v_add_f64 v[16:17], v[16:17], v[18:19]
	v_mul_f64 v[4:5], v[216:217], s[22:23]
	v_add_f64 v[6:7], v[182:183], v[6:7]
	v_add_f64 v[8:9], v[8:9], v[10:11]
	v_mul_f64 v[10:11], v[202:203], s[12:13]
	v_add_f64 v[12:13], v[12:13], -v[140:141]
	v_add_f64 v[14:15], v[14:15], v[16:17]
	v_add_f64 v[4:5], v[70:71], v[4:5]
	;; [unrolled: 1-line block ×3, first 2 shown]
	v_mul_f64 v[8:9], v[212:213], s[22:23]
	v_add_f64 v[10:11], v[10:11], -v[150:151]
	v_add_f64 v[12:13], v[12:13], v[14:15]
	v_add_f64 v[8:9], v[8:9], -v[156:157]
	v_add_f64 v[10:11], v[10:11], v[12:13]
	v_add_f64 v[86:87], v[4:5], v[6:7]
	v_accvgpr_read_b32 v6, a252
	v_add_f64 v[84:85], v[8:9], v[10:11]
	v_mul_f64 v[4:5], v[216:217], s[16:17]
	v_accvgpr_read_b32 v7, a253
	v_accvgpr_read_b32 v8, a250
	v_add_f64 v[4:5], v[6:7], v[4:5]
	v_mul_f64 v[6:7], v[204:205], s[22:23]
	v_accvgpr_read_b32 v9, a251
	v_accvgpr_read_b32 v10, a248
	v_add_f64 v[6:7], v[8:9], v[6:7]
	v_mul_f64 v[8:9], v[196:197], s[24:25]
	v_accvgpr_read_b32 v11, a249
	v_accvgpr_read_b32 v12, a246
	v_add_f64 v[8:9], v[10:11], v[8:9]
	v_mul_f64 v[10:11], v[190:191], s[14:15]
	v_accvgpr_read_b32 v13, a247
	v_accvgpr_read_b32 v14, a242
	v_add_f64 v[10:11], v[12:13], v[10:11]
	v_mul_f64 v[12:13], v[180:181], s[12:13]
	v_accvgpr_read_b32 v15, a243
	v_accvgpr_read_b32 v16, a238
	v_add_f64 v[12:13], v[14:15], v[12:13]
	v_mul_f64 v[14:15], v[172:173], s[18:19]
	v_accvgpr_read_b32 v17, a239
	v_accvgpr_read_b32 v18, a234
	v_add_f64 v[14:15], v[16:17], v[14:15]
	v_mul_f64 v[16:17], v[168:169], s[26:27]
	v_accvgpr_read_b32 v19, a235
	v_accvgpr_read_b32 v20, a230
	v_add_f64 v[16:17], v[18:19], v[16:17]
	v_mul_f64 v[18:19], v[160:161], s[20:21]
	v_accvgpr_read_b32 v21, a231
	v_add_f64 v[18:19], v[20:21], v[18:19]
	v_add_f64 v[18:19], v[2:3], v[18:19]
	;; [unrolled: 1-line block ×7, first 2 shown]
	v_accvgpr_read_b32 v10, a244
	v_add_f64 v[6:7], v[6:7], v[8:9]
	v_mul_f64 v[8:9], v[212:213], s[16:17]
	v_accvgpr_read_b32 v11, a245
	v_accvgpr_read_b32 v12, a240
	v_add_f64 v[8:9], v[8:9], -v[10:11]
	v_mul_f64 v[10:11], v[202:203], s[22:23]
	v_accvgpr_read_b32 v13, a241
	v_accvgpr_read_b32 v14, a236
	v_add_f64 v[10:11], v[10:11], -v[12:13]
	;; [unrolled: 4-line block ×7, first 2 shown]
	v_mul_f64 v[22:23], v[158:159], s[20:21]
	v_accvgpr_read_b32 v25, a223
	v_add_f64 v[22:23], v[22:23], -v[24:25]
	v_add_f64 v[22:23], v[0:1], v[22:23]
	v_add_f64 v[20:21], v[20:21], v[22:23]
	;; [unrolled: 1-line block ×9, first 2 shown]
	v_accvgpr_read_b32 v6, a220
	v_add_f64 v[88:89], v[8:9], v[10:11]
	v_mul_f64 v[4:5], v[216:217], s[24:25]
	v_accvgpr_read_b32 v7, a221
	v_accvgpr_read_b32 v8, a218
	v_add_f64 v[4:5], v[6:7], v[4:5]
	v_mul_f64 v[6:7], v[204:205], s[20:21]
	v_accvgpr_read_b32 v9, a219
	;; [unrolled: 4-line block ×8, first 2 shown]
	v_add_f64 v[18:19], v[20:21], v[18:19]
	v_add_f64 v[18:19], v[2:3], v[18:19]
	;; [unrolled: 1-line block ×7, first 2 shown]
	v_accvgpr_read_b32 v30, a204
	v_add_f64 v[6:7], v[6:7], v[8:9]
	v_mul_f64 v[8:9], v[212:213], s[24:25]
	v_accvgpr_read_b32 v31, a205
	v_accvgpr_read_b32 v32, a202
	v_add_f64 v[8:9], v[8:9], -v[30:31]
	v_mul_f64 v[30:31], v[202:203], s[20:21]
	v_accvgpr_read_b32 v33, a203
	v_add_f64 v[30:31], v[30:31], -v[32:33]
	v_accvgpr_read_b32 v32, a200
	v_mul_f64 v[68:69], v[194:195], s[12:13]
	v_accvgpr_read_b32 v33, a201
	v_add_f64 v[68:69], v[68:69], -v[32:33]
	v_accvgpr_read_b32 v32, a198
	;; [unrolled: 4-line block ×7, first 2 shown]
	v_mul_f64 v[126:127], v[216:217], s[12:13]
	v_accvgpr_read_b32 v33, a189
	v_add_f64 v[126:127], v[32:33], v[126:127]
	v_accvgpr_read_b32 v32, a186
	v_mul_f64 v[124:125], v[204:205], s[14:15]
	v_accvgpr_read_b32 v33, a187
	v_add_f64 v[124:125], v[32:33], v[124:125]
	v_accvgpr_read_b32 v32, a184
	v_mul_f64 v[122:123], v[196:197], s[18:19]
	v_accvgpr_read_b32 v33, a185
	v_add_f64 v[122:123], v[32:33], v[122:123]
	v_accvgpr_read_b32 v32, a182
	v_mul_f64 v[118:119], v[190:191], s[24:25]
	v_accvgpr_read_b32 v33, a183
	v_add_f64 v[118:119], v[32:33], v[118:119]
	v_accvgpr_read_b32 v32, a176
	v_mul_f64 v[114:115], v[180:181], s[26:27]
	v_accvgpr_read_b32 v33, a177
	v_add_f64 v[24:25], v[0:1], v[24:25]
	v_add_f64 v[114:115], v[32:33], v[114:115]
	v_accvgpr_read_b32 v32, a172
	v_mul_f64 v[106:107], v[172:173], s[22:23]
	v_add_f64 v[24:25], v[28:29], v[24:25]
	v_accvgpr_read_b32 v33, a173
	v_add_f64 v[24:25], v[98:99], v[24:25]
	v_add_f64 v[106:107], v[32:33], v[106:107]
	v_accvgpr_read_b32 v32, a166
	v_mul_f64 v[10:11], v[168:169], s[20:21]
	v_add_f64 v[24:25], v[96:97], v[24:25]
	;; [unrolled: 6-line block ×3, first 2 shown]
	v_accvgpr_read_b32 v33, a135
	v_add_f64 v[24:25], v[30:31], v[24:25]
	v_add_f64 v[22:23], v[32:33], v[22:23]
	v_accvgpr_read_b32 v32, a178
	v_add_f64 v[6:7], v[4:5], v[6:7]
	v_add_f64 v[4:5], v[8:9], v[24:25]
	v_mul_f64 v[8:9], v[202:203], s[14:15]
	v_accvgpr_read_b32 v33, a179
	v_add_f64 v[22:23], v[2:3], v[22:23]
	v_add_f64 v[8:9], v[8:9], -v[32:33]
	v_accvgpr_read_b32 v32, a174
	v_mul_f64 v[120:121], v[194:195], s[18:19]
	v_add_f64 v[10:11], v[10:11], v[22:23]
	v_accvgpr_read_b32 v33, a175
	v_add_f64 v[10:11], v[106:107], v[10:11]
	v_add_f64 v[106:107], v[120:121], -v[32:33]
	v_accvgpr_read_b32 v32, a170
	v_mul_f64 v[116:117], v[188:189], s[24:25]
	v_accvgpr_read_b32 v33, a171
	v_add_f64 v[10:11], v[114:115], v[10:11]
	v_add_f64 v[114:115], v[116:117], -v[32:33]
	v_accvgpr_read_b32 v32, a168
	v_mul_f64 v[112:113], v[178:179], s[26:27]
	v_accvgpr_read_b32 v33, a169
	v_add_f64 v[112:113], v[112:113], -v[32:33]
	v_accvgpr_read_b32 v32, a164
	v_mul_f64 v[104:105], v[170:171], s[22:23]
	v_accvgpr_read_b32 v33, a165
	;; [unrolled: 4-line block ×4, first 2 shown]
	v_add_f64 v[16:17], v[16:17], -v[32:33]
	v_add_f64 v[16:17], v[0:1], v[16:17]
	v_add_f64 v[14:15], v[14:15], v[16:17]
	;; [unrolled: 1-line block ×4, first 2 shown]
	v_accvgpr_read_b32 v22, a180
	v_add_f64 v[14:15], v[114:115], v[14:15]
	v_mul_f64 v[132:133], v[212:213], s[12:13]
	v_accvgpr_read_b32 v23, a181
	v_add_f64 v[14:15], v[106:107], v[14:15]
	v_accvgpr_read_b32 v32, a146
	v_mul_f64 v[28:29], v[180:181], s[20:21]
	v_add_f64 v[22:23], v[132:133], -v[22:23]
	v_add_f64 v[8:9], v[8:9], v[14:15]
	v_accvgpr_read_b32 v33, a147
	v_add_f64 v[8:9], v[22:23], v[8:9]
	v_accvgpr_read_b32 v22, a154
	;; [unrolled: 2-line block ×3, first 2 shown]
	v_mul_f64 v[102:103], v[172:173], s[14:15]
	v_mul_f64 v[68:69], v[196:197], s[22:23]
	v_accvgpr_read_b32 v23, a155
	v_accvgpr_read_b32 v33, a143
	v_add_f64 v[22:23], v[22:23], v[68:69]
	v_add_f64 v[68:69], v[32:33], v[102:103]
	v_accvgpr_read_b32 v32, a136
	v_mul_f64 v[12:13], v[168:169], s[16:17]
	v_accvgpr_read_b32 v33, a137
	v_add_f64 v[12:13], v[32:33], v[12:13]
	v_accvgpr_read_b32 v32, a128
	v_mul_f64 v[18:19], v[160:161], s[12:13]
	v_accvgpr_read_b32 v33, a129
	v_accvgpr_read_b32 v16, a158
	v_add_f64 v[18:19], v[32:33], v[18:19]
	v_mul_f64 v[24:25], v[204:205], s[24:25]
	v_accvgpr_read_b32 v17, a159
	v_add_f64 v[18:19], v[2:3], v[18:19]
	v_add_f64 v[16:17], v[16:17], v[24:25]
	v_accvgpr_read_b32 v24, a150
	v_add_f64 v[12:13], v[12:13], v[18:19]
	v_mul_f64 v[96:97], v[190:191], s[18:19]
	v_accvgpr_read_b32 v25, a151
	v_add_f64 v[12:13], v[68:69], v[12:13]
	v_add_f64 v[24:25], v[24:25], v[96:97]
	;; [unrolled: 1-line block ×6, first 2 shown]
	v_accvgpr_read_b32 v16, a156
	v_mul_f64 v[30:31], v[202:203], s[24:25]
	v_accvgpr_read_b32 v17, a157
	v_add_f64 v[16:17], v[30:31], -v[16:17]
	v_accvgpr_read_b32 v30, a132
	v_mul_f64 v[26:27], v[166:167], s[16:17]
	v_accvgpr_read_b32 v31, a133
	v_add_f64 v[26:27], v[26:27], -v[30:31]
	v_accvgpr_read_b32 v30, a126
	v_mul_f64 v[20:21], v[158:159], s[12:13]
	v_accvgpr_read_b32 v31, a127
	v_accvgpr_read_b32 v28, a140
	v_add_f64 v[20:21], v[20:21], -v[30:31]
	v_mul_f64 v[100:101], v[170:171], s[14:15]
	v_accvgpr_read_b32 v24, a144
	v_accvgpr_read_b32 v29, a141
	v_add_f64 v[20:21], v[0:1], v[20:21]
	v_mul_f64 v[110:111], v[178:179], s[20:21]
	v_accvgpr_read_b32 v14, a162
	v_accvgpr_read_b32 v22, a148
	;; [unrolled: 1-line block ×3, first 2 shown]
	v_add_f64 v[28:29], v[100:101], -v[28:29]
	v_add_f64 v[20:21], v[26:27], v[20:21]
	v_mul_f64 v[98:99], v[188:189], s[18:19]
	v_mul_f64 v[130:131], v[216:217], s[26:27]
	v_accvgpr_read_b32 v15, a163
	v_accvgpr_read_b32 v18, a152
	;; [unrolled: 1-line block ×3, first 2 shown]
	v_add_f64 v[24:25], v[110:111], -v[24:25]
	v_add_f64 v[20:21], v[28:29], v[20:21]
	v_mul_f64 v[70:71], v[194:195], s[22:23]
	v_add_f64 v[14:15], v[14:15], v[130:131]
	v_accvgpr_read_b32 v19, a153
	v_add_f64 v[22:23], v[98:99], -v[22:23]
	v_add_f64 v[20:21], v[24:25], v[20:21]
	v_add_f64 v[14:15], v[14:15], v[12:13]
	v_accvgpr_read_b32 v12, a160
	v_add_f64 v[18:19], v[70:71], -v[18:19]
	v_add_f64 v[20:21], v[22:23], v[20:21]
	v_mul_f64 v[128:129], v[212:213], s[26:27]
	v_accvgpr_read_b32 v13, a161
	v_add_f64 v[18:19], v[18:19], v[20:21]
	v_add_f64 v[12:13], v[128:129], -v[12:13]
	v_add_f64 v[16:17], v[16:17], v[18:19]
	v_add_f64 v[12:13], v[12:13], v[16:17]
	v_accvgpr_read_b32 v16, a22
	v_accvgpr_read_b32 v18, a24
	v_accvgpr_read_b32 v19, a25
	v_add_f64 v[2:3], v[2:3], v[18:19]
	v_accvgpr_read_b32 v18, a34
	v_accvgpr_read_b32 v20, a36
	v_accvgpr_read_b32 v21, a37
	;; [unrolled: 4-line block ×4, first 2 shown]
	v_accvgpr_read_b32 v17, a23
	v_add_f64 v[2:3], v[2:3], v[24:25]
	v_accvgpr_read_b32 v24, a106
	v_accvgpr_read_b32 v19, a35
	;; [unrolled: 1-line block ×4, first 2 shown]
	v_add_f64 v[0:1], v[0:1], v[16:17]
	v_accvgpr_read_b32 v21, a39
	v_add_f64 v[2:3], v[2:3], v[26:27]
	v_accvgpr_read_b32 v26, a110
	v_add_f64 v[0:1], v[0:1], v[18:19]
	v_accvgpr_read_b32 v23, a103
	v_accvgpr_read_b32 v28, a112
	v_accvgpr_read_b32 v29, a113
	v_add_f64 v[0:1], v[0:1], v[20:21]
	v_accvgpr_read_b32 v25, a107
	v_add_f64 v[2:3], v[2:3], v[28:29]
	v_accvgpr_read_b32 v28, a114
	v_add_f64 v[0:1], v[0:1], v[22:23]
	v_accvgpr_read_b32 v27, a111
	v_accvgpr_read_b32 v30, a116
	v_accvgpr_read_b32 v31, a117
	;; [unrolled: 8-line block ×3, first 2 shown]
	v_add_f64 v[0:1], v[0:1], v[28:29]
	v_add_f64 v[2:3], v[2:3], v[32:33]
	v_add_f64 v[0:1], v[0:1], v[30:31]
	v_add_f64 v[2:3], v[2:3], v[38:39]
	v_add_f64 v[0:1], v[0:1], v[36:37]
	v_add_f64 v[2:3], v[2:3], v[42:43]
	v_add_f64 v[0:1], v[0:1], v[40:41]
	v_add_f64 v[2:3], v[2:3], v[46:47]
	v_add_f64 v[0:1], v[0:1], v[44:45]
	v_add_f64 v[2:3], v[2:3], v[50:51]
	v_add_f64 v[0:1], v[0:1], v[48:49]
	v_add_f64 v[2:3], v[2:3], v[54:55]
	v_add_f64 v[0:1], v[0:1], v[52:53]
	v_add_f64 v[10:11], v[118:119], v[10:11]
	v_add_f64 v[2:3], v[2:3], v[58:59]
	v_add_f64 v[0:1], v[0:1], v[56:57]
	v_add_f64 v[10:11], v[122:123], v[10:11]
	v_add_f64 v[2:3], v[2:3], v[62:63]
	v_add_f64 v[0:1], v[0:1], v[60:61]
	v_mul_u32_u24_e32 v16, 17, v108
	v_add_f64 v[10:11], v[124:125], v[10:11]
	v_add_f64 v[2:3], v[2:3], v[66:67]
	;; [unrolled: 1-line block ×3, first 2 shown]
	v_lshlrev_b32_e32 v16, 4, v16
	v_add_f64 v[10:11], v[126:127], v[10:11]
	ds_write_b128 v16, v[0:3]
	ds_write_b128 v16, v[12:15] offset:16
	ds_write_b128 v16, v[8:11] offset:32
	ds_write_b128 v16, v[4:7] offset:48
	ds_write_b128 v16, v[88:91] offset:64
	ds_write_b128 v16, v[84:87] offset:80
	ds_write_b128 v16, v[80:83] offset:96
	ds_write_b128 v16, v[76:79] offset:112
	ds_write_b128 v16, v[72:75] offset:128
	ds_write_b128 v16, v[92:95] offset:144
	ds_write_b128 v16, a[98:101] offset:160
	ds_write_b128 v16, a[94:97] offset:176
	ds_write_b128 v16, a[90:93] offset:192
	ds_write_b128 v16, a[86:89] offset:208
	ds_write_b128 v16, a[82:85] offset:224
	ds_write_b128 v16, a[78:81] offset:240
	ds_write_b128 v16, a[74:77] offset:256
.LBB0_7:
	s_or_b64 exec, exec, s[0:1]
	v_accvgpr_read_b32 v184, a2
	v_lshlrev_b32_e32 v0, 4, v184
	v_add_co_u32_e64 v200, s[0:1], s6, v0
	v_mov_b32_e32 v0, s7
	v_addc_co_u32_e64 v201, s[0:1], 0, v0, s[0:1]
	s_movk_i32 s0, 0x66
	v_add_co_u32_e64 v109, s[0:1], s0, v184
	s_movk_i32 s0, 0x99
	v_add_co_u32_e64 v173, s[0:1], s0, v184
	;; [unrolled: 2-line block ×7, first 2 shown]
	s_movk_i32 s0, 0xf1
	v_mul_lo_u16_sdwa v110, v184, s0 dst_sel:DWORD dst_unused:UNUSED_PAD src0_sel:BYTE_0 src1_sel:DWORD
	v_lshrrev_b16_e32 v126, 12, v110
	v_mul_lo_u16_e32 v110, 17, v126
	v_sub_u16_e32 v127, v184, v110
	v_lshlrev_b16_e32 v110, 1, v127
	v_and_b32_e32 v110, 0xfe, v110
	v_lshlrev_b32_e32 v110, 4, v110
	s_waitcnt lgkmcnt(0)
	; wave barrier
	s_waitcnt lgkmcnt(0)
	ds_read_b128 v[0:3], v236
	ds_read_b128 v[104:107], v236 offset:7344
	ds_read_b128 v[100:103], v236 offset:14688
	;; [unrolled: 1-line block ×26, first 2 shown]
	global_load_dwordx4 v[112:115], v110, s[4:5] offset:16
	global_load_dwordx4 v[116:119], v110, s[4:5]
	s_mov_b32 s6, 0xe8584caa
	s_mov_b32 s7, 0x3febb67a
	;; [unrolled: 1-line block ×4, first 2 shown]
	v_mov_b32_e32 v174, 4
	s_mov_b32 s28, 0x523c161c
	s_mov_b32 s16, 0xa2cf5039
	;; [unrolled: 1-line block ×16, first 2 shown]
	s_waitcnt vmcnt(1)
	v_accvgpr_write_b32 a102, v112
	s_waitcnt vmcnt(0) lgkmcnt(14)
	v_mul_f64 v[110:111], v[106:107], v[118:119]
	v_fma_f64 v[110:111], v[104:105], v[116:117], -v[110:111]
	v_mul_f64 v[104:105], v[104:105], v[118:119]
	v_fmac_f64_e32 v[104:105], v[106:107], v[116:117]
	v_mul_f64 v[106:107], v[102:103], v[114:115]
	v_fma_f64 v[106:107], v[100:101], v[112:113], -v[106:107]
	v_mul_f64 v[100:101], v[100:101], v[114:115]
	v_fmac_f64_e32 v[100:101], v[102:103], v[112:113]
	v_mul_lo_u16_sdwa v102, v108, s0 dst_sel:DWORD dst_unused:UNUSED_PAD src0_sel:BYTE_0 src1_sel:DWORD
	v_lshrrev_b16_e32 v128, 12, v102
	v_mul_lo_u16_e32 v102, 17, v128
	v_sub_u16_e32 v102, v108, v102
	v_and_b32_e32 v129, 0xff, v102
	v_accvgpr_write_b32 a106, v116
	v_lshlrev_b32_e32 v102, 5, v129
	v_accvgpr_write_b32 a107, v117
	v_accvgpr_write_b32 a108, v118
	v_accvgpr_write_b32 a109, v119
	v_accvgpr_write_b32 a103, v113
	v_accvgpr_write_b32 a104, v114
	v_accvgpr_write_b32 a105, v115
	global_load_dwordx4 v[112:115], v102, s[4:5] offset:16
	global_load_dwordx4 v[116:119], v102, s[4:5]
	s_waitcnt vmcnt(1)
	v_accvgpr_write_b32 a110, v112
	s_waitcnt vmcnt(0)
	v_mul_f64 v[102:103], v[94:95], v[118:119]
	v_fma_f64 v[102:103], v[92:93], v[116:117], -v[102:103]
	v_mul_f64 v[92:93], v[92:93], v[118:119]
	v_fmac_f64_e32 v[92:93], v[94:95], v[116:117]
	v_mul_f64 v[94:95], v[98:99], v[114:115]
	v_fma_f64 v[94:95], v[96:97], v[112:113], -v[94:95]
	v_mul_f64 v[96:97], v[96:97], v[114:115]
	v_fmac_f64_e32 v[96:97], v[98:99], v[112:113]
	v_mul_lo_u16_sdwa v98, v109, s0 dst_sel:DWORD dst_unused:UNUSED_PAD src0_sel:BYTE_0 src1_sel:DWORD
	v_lshrrev_b16_e32 v130, 12, v98
	v_mul_lo_u16_e32 v98, 17, v130
	v_sub_u16_e32 v98, v109, v98
	v_and_b32_e32 v131, 0xff, v98
	v_accvgpr_write_b32 a114, v116
	v_lshlrev_b32_e32 v98, 5, v131
	v_accvgpr_write_b32 a115, v117
	v_accvgpr_write_b32 a116, v118
	v_accvgpr_write_b32 a117, v119
	v_accvgpr_write_b32 a111, v113
	v_accvgpr_write_b32 a112, v114
	v_accvgpr_write_b32 a113, v115
	global_load_dwordx4 v[112:115], v98, s[4:5] offset:16
	global_load_dwordx4 v[116:119], v98, s[4:5]
	s_waitcnt vmcnt(1)
	v_accvgpr_write_b32 a121, v115
	s_waitcnt vmcnt(0)
	;; [unrolled: 26-line block ×3, first 2 shown]
	v_mul_f64 v[86:87], v[78:79], v[118:119]
	v_fma_f64 v[86:87], v[76:77], v[116:117], -v[86:87]
	v_mul_f64 v[76:77], v[76:77], v[118:119]
	v_fmac_f64_e32 v[76:77], v[78:79], v[116:117]
	v_mul_f64 v[78:79], v[82:83], v[114:115]
	v_fma_f64 v[78:79], v[80:81], v[112:113], -v[78:79]
	v_mul_f64 v[80:81], v[80:81], v[114:115]
	v_fmac_f64_e32 v[80:81], v[82:83], v[112:113]
	v_mul_lo_u16_sdwa v82, v172, s0 dst_sel:DWORD dst_unused:UNUSED_PAD src0_sel:BYTE_0 src1_sel:DWORD
	v_lshrrev_b16_e32 v134, 12, v82
	v_mul_lo_u16_e32 v82, 17, v134
	v_sub_u16_e32 v82, v172, v82
	v_and_b32_e32 v135, 0xff, v82
	v_accvgpr_write_b32 a133, v119
	v_lshlrev_b32_e32 v82, 5, v135
	v_accvgpr_write_b32 a132, v118
	v_accvgpr_write_b32 a131, v117
	;; [unrolled: 1-line block ×6, first 2 shown]
	global_load_dwordx4 v[112:115], v82, s[4:5] offset:16
	global_load_dwordx4 v[116:119], v82, s[4:5]
	s_mov_b32 s0, 0xf0f1
	s_waitcnt vmcnt(1)
	v_accvgpr_write_b32 a137, v115
	s_waitcnt vmcnt(0) lgkmcnt(13)
	v_mul_f64 v[82:83], v[74:75], v[118:119]
	v_fma_f64 v[82:83], v[72:73], v[116:117], -v[82:83]
	v_mul_f64 v[72:73], v[72:73], v[118:119]
	v_fmac_f64_e32 v[72:73], v[74:75], v[116:117]
	s_waitcnt lgkmcnt(12)
	v_mul_f64 v[74:75], v[70:71], v[114:115]
	v_fma_f64 v[74:75], v[68:69], v[112:113], -v[74:75]
	v_mul_f64 v[68:69], v[68:69], v[114:115]
	v_fmac_f64_e32 v[68:69], v[70:71], v[112:113]
	v_mul_u32_u24_sdwa v70, v188, s0 dst_sel:DWORD dst_unused:UNUSED_PAD src0_sel:WORD_0 src1_sel:DWORD
	v_lshrrev_b32_e32 v136, 20, v70
	v_mul_lo_u16_e32 v70, 17, v136
	v_sub_u16_e32 v137, v188, v70
	v_lshlrev_b16_e32 v70, 1, v137
	v_accvgpr_write_b32 a141, v119
	v_lshlrev_b32_e32 v70, 4, v70
	v_accvgpr_write_b32 a140, v118
	v_accvgpr_write_b32 a139, v117
	v_accvgpr_write_b32 a138, v116
	v_accvgpr_write_b32 a136, v114
	v_accvgpr_write_b32 a135, v113
	v_accvgpr_write_b32 a134, v112
	global_load_dwordx4 v[112:115], v70, s[4:5] offset:16
	global_load_dwordx4 v[116:119], v70, s[4:5]
	s_waitcnt vmcnt(1)
	v_accvgpr_write_b32 a145, v115
	s_waitcnt vmcnt(0) lgkmcnt(10)
	v_mul_f64 v[70:71], v[66:67], v[118:119]
	v_fma_f64 v[70:71], v[64:65], v[116:117], -v[70:71]
	v_mul_f64 v[64:65], v[64:65], v[118:119]
	v_fmac_f64_e32 v[64:65], v[66:67], v[116:117]
	s_waitcnt lgkmcnt(9)
	v_mul_f64 v[66:67], v[62:63], v[114:115]
	v_fma_f64 v[66:67], v[60:61], v[112:113], -v[66:67]
	v_mul_f64 v[60:61], v[60:61], v[114:115]
	v_fmac_f64_e32 v[60:61], v[62:63], v[112:113]
	v_mul_u32_u24_sdwa v62, v204, s0 dst_sel:DWORD dst_unused:UNUSED_PAD src0_sel:WORD_0 src1_sel:DWORD
	v_lshrrev_b32_e32 v138, 20, v62
	v_mul_lo_u16_e32 v62, 17, v138
	v_sub_u16_e32 v139, v204, v62
	v_lshlrev_b16_e32 v62, 1, v139
	v_accvgpr_write_b32 a149, v119
	v_lshlrev_b32_e32 v62, 4, v62
	v_accvgpr_write_b32 a148, v118
	v_accvgpr_write_b32 a147, v117
	v_accvgpr_write_b32 a146, v116
	v_accvgpr_write_b32 a144, v114
	v_accvgpr_write_b32 a143, v113
	v_accvgpr_write_b32 a142, v112
	global_load_dwordx4 v[112:115], v62, s[4:5] offset:16
	global_load_dwordx4 v[116:119], v62, s[4:5]
	;; [unrolled: 27-line block ×3, first 2 shown]
	s_waitcnt vmcnt(1)
	v_accvgpr_write_b32 a161, v121
	s_waitcnt vmcnt(0) lgkmcnt(4)
	v_mul_f64 v[54:55], v[50:51], v[116:117]
	v_fma_f64 v[54:55], v[48:49], v[114:115], -v[54:55]
	v_mul_f64 v[112:113], v[48:49], v[116:117]
	v_accvgpr_write_b32 a165, v117
	s_waitcnt lgkmcnt(3)
	v_mul_f64 v[48:49], v[46:47], v[120:121]
	v_accvgpr_write_b32 a164, v116
	v_accvgpr_write_b32 a163, v115
	;; [unrolled: 1-line block ×3, first 2 shown]
	v_fmac_f64_e32 v[112:113], v[50:51], v[114:115]
	v_fma_f64 v[114:115], v[44:45], v[118:119], -v[48:49]
	v_mul_f64 v[116:117], v[44:45], v[120:121]
	v_mul_u32_u24_sdwa v44, v202, s0 dst_sel:DWORD dst_unused:UNUSED_PAD src0_sel:WORD_0 src1_sel:DWORD
	v_lshrrev_b32_e32 v142, 20, v44
	v_mul_lo_u16_e32 v44, 17, v142
	v_sub_u16_e32 v143, v202, v44
	v_lshlrev_b16_e32 v44, 1, v143
	v_lshlrev_b32_e32 v44, 4, v44
	v_fmac_f64_e32 v[116:117], v[46:47], v[118:119]
	global_load_dwordx4 v[46:49], v44, s[4:5] offset:16
	global_load_dwordx4 v[122:125], v44, s[4:5]
	v_accvgpr_write_b32 a160, v120
	v_accvgpr_write_b32 a159, v119
	;; [unrolled: 1-line block ×3, first 2 shown]
	v_add_f64 v[50:51], v[92:93], v[96:97]
	s_waitcnt lgkmcnt(0)
	; wave barrier
	s_waitcnt lgkmcnt(0)
	s_movk_i32 s0, 0xa1
	s_waitcnt vmcnt(1)
	v_accvgpr_write_b32 a171, v49
	s_waitcnt vmcnt(0)
	v_accvgpr_write_b32 a175, v125
	v_mul_f64 v[44:45], v[42:43], v[124:125]
	v_mul_f64 v[120:121], v[40:41], v[124:125]
	v_accvgpr_write_b32 a174, v124
	v_accvgpr_write_b32 a173, v123
	;; [unrolled: 1-line block ×3, first 2 shown]
	v_mul_f64 v[124:125], v[36:37], v[48:49]
	v_fma_f64 v[118:119], v[40:41], v[122:123], -v[44:45]
	v_mul_f64 v[40:41], v[38:39], v[48:49]
	v_fmac_f64_e32 v[124:125], v[38:39], v[46:47]
	v_add_f64 v[38:39], v[110:111], v[106:107]
	v_fmac_f64_e32 v[120:121], v[42:43], v[122:123]
	v_fma_f64 v[122:123], v[36:37], v[46:47], -v[40:41]
	v_add_f64 v[36:37], v[0:1], v[110:111]
	v_fmac_f64_e32 v[0:1], -0.5, v[38:39]
	v_add_f64 v[38:39], v[104:105], -v[100:101]
	v_add_f64 v[42:43], v[104:105], v[100:101]
	v_accvgpr_write_b32 a170, v48
	v_accvgpr_write_b32 a169, v47
	;; [unrolled: 1-line block ×3, first 2 shown]
	v_fma_f64 v[40:41], s[6:7], v[38:39], v[0:1]
	v_fmac_f64_e32 v[0:1], s[12:13], v[38:39]
	v_add_f64 v[38:39], v[2:3], v[104:105]
	v_fmac_f64_e32 v[2:3], -0.5, v[42:43]
	v_add_f64 v[44:45], v[110:111], -v[106:107]
	v_add_f64 v[46:47], v[102:103], v[94:95]
	v_fma_f64 v[42:43], s[12:13], v[44:45], v[2:3]
	v_fmac_f64_e32 v[2:3], s[6:7], v[44:45]
	v_add_f64 v[44:45], v[4:5], v[102:103]
	v_fmac_f64_e32 v[4:5], -0.5, v[46:47]
	v_add_f64 v[46:47], v[92:93], -v[96:97]
	v_add_f64 v[44:45], v[44:45], v[94:95]
	;; [unrolled: 6-line block ×4, first 2 shown]
	v_fma_f64 v[96:97], s[6:7], v[94:95], v[8:9]
	v_fmac_f64_e32 v[8:9], s[12:13], v[94:95]
	v_add_f64 v[94:95], v[10:11], v[88:89]
	v_add_f64 v[94:95], v[94:95], v[84:85]
	;; [unrolled: 1-line block ×3, first 2 shown]
	v_fmac_f64_e32 v[10:11], -0.5, v[84:85]
	v_add_f64 v[84:85], v[98:99], -v[90:91]
	v_fma_f64 v[98:99], s[12:13], v[84:85], v[10:11]
	v_fmac_f64_e32 v[10:11], s[6:7], v[84:85]
	v_add_f64 v[84:85], v[12:13], v[86:87]
	v_add_f64 v[88:89], v[84:85], v[78:79]
	;; [unrolled: 1-line block ×4, first 2 shown]
	v_fmac_f64_e32 v[12:13], -0.5, v[84:85]
	v_add_f64 v[90:91], v[76:77], -v[80:81]
	v_fma_f64 v[84:85], s[6:7], v[90:91], v[12:13]
	v_fmac_f64_e32 v[12:13], s[12:13], v[90:91]
	v_add_f64 v[90:91], v[14:15], v[76:77]
	v_add_f64 v[76:77], v[76:77], v[80:81]
	v_fmac_f64_e32 v[14:15], -0.5, v[76:77]
	v_add_f64 v[76:77], v[86:87], -v[78:79]
	v_add_f64 v[78:79], v[82:83], v[74:75]
	v_fma_f64 v[86:87], s[12:13], v[76:77], v[14:15]
	v_fmac_f64_e32 v[14:15], s[6:7], v[76:77]
	v_add_f64 v[76:77], v[16:17], v[82:83]
	v_fmac_f64_e32 v[16:17], -0.5, v[78:79]
	v_add_f64 v[78:79], v[72:73], -v[68:69]
	v_add_f64 v[90:91], v[90:91], v[80:81]
	v_fma_f64 v[80:81], s[6:7], v[78:79], v[16:17]
	v_fmac_f64_e32 v[16:17], s[12:13], v[78:79]
	v_add_f64 v[78:79], v[18:19], v[72:73]
	v_add_f64 v[78:79], v[78:79], v[68:69]
	;; [unrolled: 1-line block ×3, first 2 shown]
	v_fmac_f64_e32 v[18:19], -0.5, v[68:69]
	v_add_f64 v[68:69], v[82:83], -v[74:75]
	v_fma_f64 v[82:83], s[12:13], v[68:69], v[18:19]
	v_fmac_f64_e32 v[18:19], s[6:7], v[68:69]
	v_add_f64 v[68:69], v[20:21], v[70:71]
	v_add_f64 v[72:73], v[68:69], v[66:67]
	;; [unrolled: 1-line block ×4, first 2 shown]
	v_fmac_f64_e32 v[20:21], -0.5, v[68:69]
	v_add_f64 v[74:75], v[64:65], -v[60:61]
	v_fma_f64 v[68:69], s[6:7], v[74:75], v[20:21]
	v_fmac_f64_e32 v[20:21], s[12:13], v[74:75]
	v_add_f64 v[74:75], v[22:23], v[64:65]
	v_add_f64 v[74:75], v[74:75], v[60:61]
	v_add_f64 v[60:61], v[64:65], v[60:61]
	v_fmac_f64_e32 v[22:23], -0.5, v[60:61]
	v_add_f64 v[60:61], v[70:71], -v[66:67]
	v_fma_f64 v[70:71], s[12:13], v[60:61], v[22:23]
	v_fmac_f64_e32 v[22:23], s[6:7], v[60:61]
	v_add_f64 v[60:61], v[24:25], v[62:63]
	v_add_f64 v[64:65], v[60:61], v[58:59]
	v_add_f64 v[60:61], v[62:63], v[58:59]
	v_fmac_f64_e32 v[24:25], -0.5, v[60:61]
	v_add_f64 v[66:67], v[56:57], -v[52:53]
	v_fma_f64 v[60:61], s[6:7], v[66:67], v[24:25]
	v_fmac_f64_e32 v[24:25], s[12:13], v[66:67]
	v_add_f64 v[66:67], v[26:27], v[56:57]
	v_add_f64 v[66:67], v[66:67], v[52:53]
	v_add_f64 v[52:53], v[56:57], v[52:53]
	v_fmac_f64_e32 v[26:27], -0.5, v[52:53]
	v_add_f64 v[52:53], v[62:63], -v[58:59]
	v_fma_f64 v[62:63], s[12:13], v[52:53], v[26:27]
	v_fmac_f64_e32 v[26:27], s[6:7], v[52:53]
	v_add_f64 v[52:53], v[28:29], v[54:55]
	v_add_f64 v[56:57], v[52:53], v[114:115]
	v_add_f64 v[52:53], v[54:55], v[114:115]
	v_add_f64 v[38:39], v[38:39], v[100:101]
	v_fmac_f64_e32 v[28:29], -0.5, v[52:53]
	v_add_f64 v[58:59], v[112:113], -v[116:117]
	v_add_f64 v[100:101], v[112:113], v[116:117]
	v_fma_f64 v[52:53], s[6:7], v[58:59], v[28:29]
	v_fmac_f64_e32 v[28:29], s[12:13], v[58:59]
	v_add_f64 v[58:59], v[30:31], v[112:113]
	v_fmac_f64_e32 v[30:31], -0.5, v[100:101]
	v_add_f64 v[100:101], v[54:55], -v[114:115]
	v_add_f64 v[102:103], v[118:119], v[122:123]
	v_add_f64 v[36:37], v[36:37], v[106:107]
	v_fma_f64 v[54:55], s[12:13], v[100:101], v[30:31]
	v_fmac_f64_e32 v[30:31], s[6:7], v[100:101]
	v_add_f64 v[100:101], v[32:33], v[118:119]
	v_fmac_f64_e32 v[32:33], -0.5, v[102:103]
	v_add_f64 v[102:103], v[120:121], -v[124:125]
	v_add_f64 v[106:107], v[120:121], v[124:125]
	v_fma_f64 v[104:105], s[6:7], v[102:103], v[32:33]
	v_fmac_f64_e32 v[32:33], s[12:13], v[102:103]
	v_add_f64 v[102:103], v[34:35], v[120:121]
	v_fmac_f64_e32 v[34:35], -0.5, v[106:107]
	v_add_f64 v[110:111], v[118:119], -v[122:123]
	v_fma_f64 v[106:107], s[12:13], v[110:111], v[34:35]
	v_fmac_f64_e32 v[34:35], s[6:7], v[110:111]
	v_mad_legacy_u16 v110, v126, 51, v127
	v_lshlrev_b32_sdwa v238, v174, v110 dst_sel:DWORD dst_unused:UNUSED_PAD src0_sel:DWORD src1_sel:BYTE_0
	ds_write_b128 v238, v[36:39]
	ds_write_b128 v238, v[40:43] offset:272
	ds_write_b128 v238, v[0:3] offset:544
	v_mul_u32_u24_e32 v0, 51, v128
	v_add_lshl_u32 v0, v0, v129, 4
	ds_write_b128 v0, v[44:47]
	ds_write_b128 v0, v[48:51] offset:272
	v_accvgpr_write_b32 a180, v0
	ds_write_b128 v0, v[4:7] offset:544
	v_mul_u32_u24_e32 v0, 51, v130
	v_add_lshl_u32 v0, v0, v131, 4
	ds_write_b128 v0, v[92:95]
	ds_write_b128 v0, v[96:99] offset:272
	v_accvgpr_write_b32 a3, v0
	ds_write_b128 v0, v[8:11] offset:544
	v_mul_u32_u24_e32 v0, 51, v132
	v_add_lshl_u32 v0, v0, v133, 4
	ds_write_b128 v0, v[88:91]
	ds_write_b128 v0, v[84:87] offset:272
	v_accvgpr_write_b32 a255, v0
	ds_write_b128 v0, v[12:15] offset:544
	v_mul_u32_u24_e32 v0, 51, v134
	v_add_lshl_u32 v0, v0, v135, 4
	ds_write_b128 v0, v[76:79]
	ds_write_b128 v0, v[80:83] offset:272
	v_accvgpr_write_b32 a254, v0
	ds_write_b128 v0, v[16:19] offset:544
	v_mad_legacy_u16 v0, v136, 51, v137
	v_lshlrev_b32_e32 v0, 4, v0
	ds_write_b128 v0, v[72:75]
	ds_write_b128 v0, v[68:71] offset:272
	v_accvgpr_write_b32 a181, v0
	ds_write_b128 v0, v[20:23] offset:544
	v_mad_legacy_u16 v0, v138, 51, v139
	v_lshlrev_b32_e32 v0, 4, v0
	ds_write_b128 v0, v[64:67]
	ds_write_b128 v0, v[60:63] offset:272
	v_accvgpr_write_b32 a5, v0
	ds_write_b128 v0, v[24:27] offset:544
	v_mad_legacy_u16 v0, v140, 51, v141
	v_add_f64 v[58:59], v[58:59], v[116:117]
	v_lshlrev_b32_e32 v0, 4, v0
	ds_write_b128 v0, v[56:59]
	ds_write_b128 v0, v[52:55] offset:272
	v_accvgpr_write_b32 a166, v0
	ds_write_b128 v0, v[28:31] offset:544
	v_mad_legacy_u16 v0, v142, 51, v143
	v_add_f64 v[100:101], v[100:101], v[122:123]
	v_add_f64 v[102:103], v[102:103], v[124:125]
	v_lshlrev_b32_e32 v0, 4, v0
	v_lshlrev_b32_e32 v116, 7, v184
	ds_write_b128 v0, v[100:103]
	ds_write_b128 v0, v[104:107] offset:272
	v_accvgpr_write_b32 a167, v0
	ds_write_b128 v0, v[32:35] offset:544
	s_waitcnt lgkmcnt(0)
	; wave barrier
	s_waitcnt lgkmcnt(0)
	ds_read_b128 v[16:19], v236
	ds_read_b128 v[104:107], v236 offset:2448
	ds_read_b128 v[100:103], v236 offset:4896
	;; [unrolled: 1-line block ×26, first 2 shown]
	global_load_dwordx4 v[168:171], v116, s[4:5] offset:592
	global_load_dwordx4 v[176:179], v116, s[4:5] offset:576
	;; [unrolled: 1-line block ×8, first 2 shown]
	s_waitcnt vmcnt(7) lgkmcnt(14)
	v_mul_f64 v[114:115], v[92:93], v[170:171]
	s_waitcnt vmcnt(6)
	v_mul_f64 v[132:133], v[96:97], v[178:179]
	s_waitcnt vmcnt(5)
	;; [unrolled: 2-line block ×3, first 2 shown]
	v_mul_f64 v[110:111], v[106:107], v[194:195]
	v_fma_f64 v[142:143], v[104:105], v[192:193], -v[110:111]
	v_mul_f64 v[138:139], v[104:105], v[194:195]
	v_mul_f64 v[104:105], v[102:103], v[182:183]
	v_fma_f64 v[140:141], v[100:101], v[180:181], -v[104:105]
	v_mul_f64 v[100:101], v[98:99], v[178:179]
	v_fma_f64 v[136:137], v[96:97], v[176:177], -v[100:101]
	;; [unrolled: 2-line block ×3, first 2 shown]
	s_waitcnt vmcnt(0)
	v_mul_f64 v[92:93], v[90:91], v[198:199]
	v_fma_f64 v[122:123], v[88:89], v[196:197], -v[92:93]
	v_mul_f64 v[116:117], v[88:89], v[198:199]
	v_mul_f64 v[88:89], v[86:87], v[162:163]
	v_fma_f64 v[146:147], v[84:85], v[160:161], -v[88:89]
	v_mul_f64 v[144:145], v[84:85], v[162:163]
	;; [unrolled: 3-line block ×4, first 2 shown]
	v_mul_f64 v[76:77], v[74:75], v[194:195]
	v_fmac_f64_e32 v[132:133], v[98:99], v[176:177]
	v_fmac_f64_e32 v[114:115], v[94:95], v[168:169]
	v_fma_f64 v[98:99], v[72:73], v[192:193], -v[76:77]
	v_mul_f64 v[94:95], v[72:73], v[194:195]
	v_mul_f64 v[72:73], v[70:71], v[182:183]
	v_fmac_f64_e32 v[116:117], v[90:91], v[196:197]
	v_fma_f64 v[96:97], v[68:69], v[180:181], -v[72:73]
	v_mul_f64 v[90:91], v[68:69], v[182:183]
	v_mul_f64 v[68:69], v[66:67], v[178:179]
	v_fma_f64 v[92:93], v[64:65], v[176:177], -v[68:69]
	v_mul_f64 v[88:89], v[64:65], v[178:179]
	s_waitcnt lgkmcnt(13)
	v_mul_f64 v[64:65], v[62:63], v[170:171]
	v_fmac_f64_e32 v[94:95], v[74:75], v[192:193]
	v_fma_f64 v[72:73], v[60:61], v[168:169], -v[64:65]
	v_mul_f64 v[74:75], v[60:61], v[170:171]
	s_waitcnt lgkmcnt(12)
	v_mul_f64 v[60:61], v[58:59], v[198:199]
	v_fmac_f64_e32 v[90:91], v[70:71], v[180:181]
	;; [unrolled: 5-line block ×3, first 2 shown]
	v_fma_f64 v[62:63], v[52:53], v[160:161], -v[56:57]
	v_mul_f64 v[60:61], v[52:53], v[162:163]
	s_waitcnt lgkmcnt(10)
	v_mul_f64 v[52:53], v[50:51], v[158:159]
	v_fma_f64 v[110:111], v[48:49], v[156:157], -v[52:53]
	v_mul_f64 v[48:49], v[48:49], v[158:159]
	v_fmac_f64_e32 v[48:49], v[50:51], v[156:157]
	s_waitcnt lgkmcnt(9)
	v_mul_f64 v[50:51], v[46:47], v[150:151]
	v_fma_f64 v[50:51], v[44:45], v[148:149], -v[50:51]
	v_mul_f64 v[44:45], v[44:45], v[150:151]
	v_fmac_f64_e32 v[44:45], v[46:47], v[148:149]
	v_mul_lo_u16_sdwa v46, v109, s0 dst_sel:DWORD dst_unused:UNUSED_PAD src0_sel:BYTE_0 src1_sel:DWORD
	v_lshrrev_b16_e32 v46, 13, v46
	v_mul_lo_u16_e32 v46, 51, v46
	v_sub_u16_e32 v175, v109, v46
	v_mov_b32_e32 v46, 7
	v_lshlrev_b32_sdwa v52, v46, v175 dst_sel:DWORD dst_unused:UNUSED_PAD src0_sel:DWORD src1_sel:BYTE_0
	v_fmac_f64_e32 v[134:135], v[102:103], v[180:181]
	v_fmac_f64_e32 v[164:165], v[78:79], v[148:149]
	;; [unrolled: 1-line block ×4, first 2 shown]
	global_load_dwordx4 v[54:57], v52, s[4:5] offset:592
	global_load_dwordx4 v[64:67], v52, s[4:5] offset:576
	;; [unrolled: 1-line block ×4, first 2 shown]
	v_fmac_f64_e32 v[144:145], v[86:87], v[160:161]
	v_fmac_f64_e32 v[152:153], v[82:83], v[156:157]
	;; [unrolled: 1-line block ×4, first 2 shown]
	v_add_f64 v[58:59], v[142:143], -v[166:167]
	s_mov_b32 s0, 0x42522d1b
	s_mov_b32 s1, 0xbfee11f6
	v_lshlrev_b32_sdwa v239, v174, v175 dst_sel:DWORD dst_unused:UNUSED_PAD src0_sel:DWORD src1_sel:BYTE_0
	s_waitcnt vmcnt(3)
	v_accvgpr_write_b32 a185, v57
	v_accvgpr_write_b32 a184, v56
	s_waitcnt vmcnt(1)
	v_accvgpr_write_b32 a197, v103
	s_waitcnt vmcnt(0) lgkmcnt(7)
	v_mul_f64 v[46:47], v[42:43], v[78:79]
	v_fma_f64 v[86:87], v[40:41], v[76:77], -v[46:47]
	v_mul_f64 v[82:83], v[40:41], v[78:79]
	v_accvgpr_write_b32 a209, v79
	s_waitcnt lgkmcnt(6)
	v_mul_f64 v[40:41], v[38:39], v[102:103]
	v_accvgpr_write_b32 a208, v78
	v_accvgpr_write_b32 a207, v77
	;; [unrolled: 1-line block ×3, first 2 shown]
	v_fma_f64 v[84:85], v[36:37], v[100:101], -v[40:41]
	v_mul_f64 v[78:79], v[36:37], v[102:103]
	s_waitcnt lgkmcnt(5)
	v_mul_f64 v[36:37], v[34:35], v[66:67]
	v_fmac_f64_e32 v[82:83], v[42:43], v[76:77]
	v_accvgpr_write_b32 a196, v102
	v_accvgpr_write_b32 a195, v101
	v_accvgpr_write_b32 a194, v100
	v_fma_f64 v[80:81], v[32:33], v[64:65], -v[36:37]
	v_mul_f64 v[76:77], v[32:33], v[66:67]
	s_waitcnt lgkmcnt(4)
	v_mul_f64 v[32:33], v[30:31], v[56:57]
	v_mul_f64 v[102:103], v[28:29], v[56:57]
	v_fmac_f64_e32 v[78:79], v[38:39], v[100:101]
	v_fmac_f64_e32 v[76:77], v[34:35], v[64:65]
	v_fma_f64 v[100:101], v[28:29], v[54:55], -v[32:33]
	v_accvgpr_write_b32 a183, v55
	v_accvgpr_write_b32 a182, v54
	v_fmac_f64_e32 v[102:103], v[30:31], v[54:55]
	global_load_dwordx4 v[30:33], v52, s[4:5] offset:656
	global_load_dwordx4 v[34:37], v52, s[4:5] offset:640
	;; [unrolled: 1-line block ×3, first 2 shown]
	s_nop 0
	global_load_dwordx4 v[52:55], v52, s[4:5] offset:608
	v_accvgpr_write_b32 a189, v67
	v_accvgpr_write_b32 a188, v66
	v_accvgpr_write_b32 a187, v65
	v_accvgpr_write_b32 a186, v64
	v_add_f64 v[64:65], v[138:139], -v[164:165]
	v_add_f64 v[46:47], v[134:135], v[152:153]
	v_add_f64 v[134:135], v[134:135], -v[152:153]
	v_add_f64 v[42:43], v[136:137], v[146:147]
	v_add_f64 v[66:67], v[140:141], -v[154:155]
	v_add_f64 v[136:137], v[136:137], -v[146:147]
	v_add_f64 v[56:57], v[112:113], v[122:123]
	s_waitcnt lgkmcnt(0)
	; wave barrier
	s_waitcnt vmcnt(3) lgkmcnt(0)
	v_mul_f64 v[128:129], v[8:9], v[32:33]
	s_waitcnt vmcnt(2)
	v_mul_f64 v[124:125], v[12:13], v[36:37]
	s_waitcnt vmcnt(1)
	v_mul_f64 v[118:119], v[20:21], v[40:41]
	s_waitcnt vmcnt(0)
	v_mul_f64 v[28:29], v[26:27], v[54:55]
	v_fma_f64 v[106:107], v[24:25], v[52:53], -v[28:29]
	v_mul_f64 v[104:105], v[24:25], v[54:55]
	v_mul_f64 v[24:25], v[22:23], v[40:41]
	v_fma_f64 v[120:121], v[20:21], v[38:39], -v[24:25]
	v_accvgpr_write_b32 a205, v41
	v_mul_f64 v[20:21], v[14:15], v[36:37]
	v_accvgpr_write_b32 a213, v55
	v_accvgpr_write_b32 a204, v40
	;; [unrolled: 1-line block ×4, first 2 shown]
	v_fmac_f64_e32 v[118:119], v[22:23], v[38:39]
	v_fma_f64 v[126:127], v[12:13], v[34:35], -v[20:21]
	v_accvgpr_write_b32 a201, v37
	v_mul_f64 v[12:13], v[10:11], v[32:33]
	v_add_f64 v[38:39], v[142:143], v[166:167]
	v_accvgpr_write_b32 a212, v54
	v_accvgpr_write_b32 a211, v53
	;; [unrolled: 1-line block ×3, first 2 shown]
	v_fmac_f64_e32 v[104:105], v[26:27], v[52:53]
	v_accvgpr_write_b32 a200, v36
	v_accvgpr_write_b32 a199, v35
	;; [unrolled: 1-line block ×3, first 2 shown]
	v_fma_f64 v[130:131], v[8:9], v[30:31], -v[12:13]
	v_fmac_f64_e32 v[128:129], v[10:11], v[30:31]
	v_add_f64 v[36:37], v[138:139], v[164:165]
	v_add_f64 v[52:53], v[140:141], v[154:155]
	v_mul_f64 v[10:11], v[64:65], s[28:29]
	v_fma_f64 v[8:9], s[16:17], v[38:39], v[16:17]
	v_fmac_f64_e32 v[124:125], v[14:15], v[34:35]
	v_add_f64 v[40:41], v[132:133], v[144:145]
	v_add_f64 v[132:133], v[132:133], -v[144:145]
	v_mul_f64 v[12:13], v[58:59], s[28:29]
	v_fmac_f64_e32 v[10:11], s[20:21], v[134:135]
	v_fma_f64 v[14:15], s[16:17], v[36:37], v[18:19]
	v_fmac_f64_e32 v[8:9], s[14:15], v[52:53]
	v_fmac_f64_e32 v[12:13], s[20:21], v[66:67]
	;; [unrolled: 1-line block ×3, first 2 shown]
	v_add_f64 v[140:141], v[114:115], -v[116:117]
	v_fmac_f64_e32 v[14:15], s[14:15], v[46:47]
	v_fmac_f64_e32 v[8:9], -0.5, v[42:43]
	v_accvgpr_write_b32 a193, v33
	v_fmac_f64_e32 v[12:13], s[18:19], v[136:137]
	v_add_f64 v[138:139], v[112:113], -v[122:123]
	v_fmac_f64_e32 v[10:11], s[22:23], v[140:141]
	v_fmac_f64_e32 v[14:15], -0.5, v[40:41]
	v_add_f64 v[54:55], v[114:115], v[116:117]
	v_fmac_f64_e32 v[8:9], s[0:1], v[56:57]
	v_accvgpr_write_b32 a192, v32
	v_accvgpr_write_b32 a191, v31
	;; [unrolled: 1-line block ×3, first 2 shown]
	v_fmac_f64_e32 v[12:13], s[22:23], v[138:139]
	v_fmac_f64_e32 v[14:15], s[0:1], v[54:55]
	v_add_f64 v[32:33], v[10:11], v[8:9]
	v_add_f64 v[34:35], v[14:15], -v[12:13]
	v_pk_mov_b32 v[8:9], v[32:33], v[32:33] op_sel:[0,1]
	v_fmac_f64_e32 v[8:9], -2.0, v[10:11]
	v_pk_mov_b32 v[10:11], v[34:35], v[34:35] op_sel:[0,1]
	v_fmac_f64_e32 v[10:11], 2.0, v[12:13]
	v_mul_f64 v[14:15], v[140:141], s[24:25]
	v_fma_f64 v[12:13], s[16:17], v[56:57], v[16:17]
	v_mul_f64 v[20:21], v[138:139], s[24:25]
	v_fmac_f64_e32 v[14:15], s[20:21], v[64:65]
	v_fma_f64 v[22:23], s[16:17], v[54:55], v[18:19]
	v_fmac_f64_e32 v[12:13], s[14:15], v[38:39]
	v_fmac_f64_e32 v[20:21], s[20:21], v[58:59]
	;; [unrolled: 1-line block ×4, first 2 shown]
	v_fmac_f64_e32 v[12:13], -0.5, v[42:43]
	v_fmac_f64_e32 v[20:21], s[26:27], v[136:137]
	v_fmac_f64_e32 v[14:15], s[22:23], v[134:135]
	v_fmac_f64_e32 v[22:23], -0.5, v[40:41]
	v_fmac_f64_e32 v[12:13], s[0:1], v[52:53]
	v_fmac_f64_e32 v[20:21], s[22:23], v[66:67]
	;; [unrolled: 1-line block ×3, first 2 shown]
	v_add_f64 v[28:29], v[14:15], v[12:13]
	v_add_f64 v[30:31], v[22:23], -v[20:21]
	v_pk_mov_b32 v[12:13], v[28:29], v[28:29] op_sel:[0,1]
	v_fmac_f64_e32 v[12:13], -2.0, v[14:15]
	v_pk_mov_b32 v[14:15], v[30:31], v[30:31] op_sel:[0,1]
	v_fmac_f64_e32 v[14:15], 2.0, v[20:21]
	v_add_f64 v[20:21], v[138:139], v[58:59]
	v_mul_f64 v[138:139], v[138:139], s[20:21]
	v_add_f64 v[22:23], v[140:141], v[64:65]
	v_mul_f64 v[140:141], v[140:141], s[20:21]
	v_fma_f64 v[138:139], v[66:67], s[24:25], -v[138:139]
	v_add_f64 v[22:23], v[22:23], -v[134:135]
	v_add_f64 v[146:147], v[52:53], v[38:39]
	v_fma_f64 v[134:135], v[134:135], s[24:25], -v[140:141]
	v_fmac_f64_e32 v[138:139], s[18:19], v[136:137]
	v_add_f64 v[152:153], v[46:47], v[36:37]
	v_fmac_f64_e32 v[134:135], s[18:19], v[132:133]
	v_fmac_f64_e32 v[138:139], s[22:23], v[58:59]
	v_add_f64 v[58:59], v[42:43], v[146:147]
	v_fmac_f64_e32 v[134:135], s[22:23], v[64:65]
	v_add_f64 v[64:65], v[40:41], v[152:153]
	v_add_f64 v[58:59], v[112:113], v[58:59]
	;; [unrolled: 1-line block ×4, first 2 shown]
	v_add_f64 v[20:21], v[20:21], -v[66:67]
	v_add_f64 v[24:25], v[16:17], v[42:43]
	v_add_f64 v[66:67], v[116:117], v[64:65]
	;; [unrolled: 1-line block ×3, first 2 shown]
	v_fmac_f64_e32 v[16:17], s[16:17], v[52:53]
	v_fmac_f64_e32 v[16:17], s[14:15], v[56:57]
	v_add_f64 v[26:27], v[18:19], v[40:41]
	v_add_f64 v[66:67], v[18:19], v[66:67]
	v_fmac_f64_e32 v[18:19], s[16:17], v[46:47]
	v_fmac_f64_e32 v[16:17], -0.5, v[42:43]
	v_fmac_f64_e32 v[18:19], s[14:15], v[54:55]
	v_fmac_f64_e32 v[16:17], s[0:1], v[38:39]
	v_add_f64 v[154:155], v[56:57], v[146:147]
	v_fmac_f64_e32 v[18:19], -0.5, v[40:41]
	v_add_f64 v[56:57], v[134:135], v[16:17]
	v_fmac_f64_e32 v[18:19], s[0:1], v[36:37]
	v_pk_mov_b32 v[52:53], v[56:57], v[56:57] op_sel:[0,1]
	v_add_f64 v[114:115], v[98:99], v[50:51]
	v_add_f64 v[112:113], v[94:95], v[44:45]
	v_add_f64 v[94:95], v[94:95], -v[44:45]
	v_add_f64 v[58:59], v[18:19], -v[138:139]
	v_fmac_f64_e32 v[52:53], -2.0, v[134:135]
	v_add_f64 v[134:135], v[96:97], v[110:111]
	v_add_f64 v[98:99], v[98:99], -v[50:51]
	v_add_f64 v[96:97], v[96:97], -v[110:111]
	;; [unrolled: 1-line block ×3, first 2 shown]
	v_mul_f64 v[18:19], v[94:95], s[28:29]
	v_fma_f64 v[16:17], s[16:17], v[114:115], v[4:5]
	v_add_f64 v[132:133], v[90:91], v[48:49]
	v_add_f64 v[122:123], v[92:93], v[62:63]
	v_add_f64 v[136:137], v[88:89], -v[60:61]
	v_mul_f64 v[36:37], v[98:99], s[28:29]
	v_fmac_f64_e32 v[18:19], s[20:21], v[110:111]
	v_fma_f64 v[38:39], s[16:17], v[112:113], v[6:7]
	v_fmac_f64_e32 v[16:17], s[14:15], v[134:135]
	v_add_f64 v[164:165], v[54:55], v[152:153]
	v_pk_mov_b32 v[54:55], v[58:59], v[58:59] op_sel:[0,1]
	v_add_f64 v[116:117], v[88:89], v[60:61]
	v_add_f64 v[92:93], v[92:93], -v[62:63]
	v_fmac_f64_e32 v[36:37], s[20:21], v[96:97]
	v_fmac_f64_e32 v[18:19], s[18:19], v[136:137]
	v_add_f64 v[140:141], v[74:75], -v[68:69]
	v_fmac_f64_e32 v[38:39], s[14:15], v[132:133]
	v_fmac_f64_e32 v[16:17], -0.5, v[122:123]
	v_add_f64 v[90:91], v[72:73], v[70:71]
	v_fmac_f64_e32 v[54:55], 2.0, v[138:139]
	v_fmac_f64_e32 v[36:37], s[18:19], v[92:93]
	v_add_f64 v[138:139], v[72:73], -v[70:71]
	v_fmac_f64_e32 v[18:19], s[22:23], v[140:141]
	v_fmac_f64_e32 v[38:39], -0.5, v[116:117]
	v_add_f64 v[88:89], v[74:75], v[68:69]
	v_fmac_f64_e32 v[16:17], s[0:1], v[90:91]
	v_fmac_f64_e32 v[36:37], s[22:23], v[138:139]
	;; [unrolled: 1-line block ×3, first 2 shown]
	v_add_f64 v[40:41], v[18:19], v[16:17]
	v_add_f64 v[42:43], v[38:39], -v[36:37]
	v_pk_mov_b32 v[16:17], v[40:41], v[40:41] op_sel:[0,1]
	v_fmac_f64_e32 v[16:17], -2.0, v[18:19]
	v_pk_mov_b32 v[18:19], v[42:43], v[42:43] op_sel:[0,1]
	v_fmac_f64_e32 v[18:19], 2.0, v[36:37]
	v_mul_f64 v[38:39], v[140:141], s[24:25]
	v_fma_f64 v[36:37], s[16:17], v[90:91], v[4:5]
	v_mul_f64 v[48:49], v[138:139], s[24:25]
	v_fmac_f64_e32 v[38:39], s[20:21], v[94:95]
	v_fma_f64 v[46:47], s[16:17], v[88:89], v[6:7]
	v_fmac_f64_e32 v[36:37], s[14:15], v[114:115]
	v_fmac_f64_e32 v[48:49], s[20:21], v[98:99]
	;; [unrolled: 1-line block ×4, first 2 shown]
	v_fmac_f64_e32 v[36:37], -0.5, v[122:123]
	v_fmac_f64_e32 v[48:49], s[26:27], v[92:93]
	v_fmac_f64_e32 v[38:39], s[22:23], v[110:111]
	v_fmac_f64_e32 v[46:47], -0.5, v[116:117]
	v_fmac_f64_e32 v[36:37], s[0:1], v[134:135]
	v_fmac_f64_e32 v[48:49], s[22:23], v[96:97]
	v_fmac_f64_e32 v[46:47], s[0:1], v[132:133]
	v_add_f64 v[44:45], v[38:39], v[36:37]
	v_add_f64 v[46:47], v[46:47], -v[48:49]
	v_pk_mov_b32 v[36:37], v[44:45], v[44:45] op_sel:[0,1]
	v_fmac_f64_e32 v[36:37], -2.0, v[38:39]
	v_pk_mov_b32 v[38:39], v[46:47], v[46:47] op_sel:[0,1]
	v_fmac_f64_e32 v[38:39], 2.0, v[48:49]
	v_add_f64 v[48:49], v[138:139], v[98:99]
	v_add_f64 v[50:51], v[140:141], v[94:95]
	v_mul_f64 v[138:139], v[138:139], s[20:21]
	v_mul_f64 v[140:141], v[140:141], s[20:21]
	v_add_f64 v[60:61], v[48:49], -v[96:97]
	v_add_f64 v[62:63], v[50:51], -v[110:111]
	v_add_f64 v[146:147], v[134:135], v[114:115]
	v_fma_f64 v[96:97], v[96:97], s[24:25], -v[138:139]
	v_fma_f64 v[110:111], v[110:111], s[24:25], -v[140:141]
	v_add_f64 v[152:153], v[132:133], v[112:113]
	v_fmac_f64_e32 v[96:97], s[18:19], v[92:93]
	v_fmac_f64_e32 v[110:111], s[18:19], v[136:137]
	v_add_f64 v[92:93], v[122:123], v[146:147]
	v_fmac_f64_e32 v[110:111], s[22:23], v[94:95]
	v_add_f64 v[94:95], v[116:117], v[152:153]
	v_add_f64 v[72:73], v[72:73], v[92:93]
	;; [unrolled: 1-line block ×7, first 2 shown]
	v_fmac_f64_e32 v[4:5], s[16:17], v[134:135]
	v_fmac_f64_e32 v[4:5], s[14:15], v[90:91]
	v_fmac_f64_e32 v[4:5], -0.5, v[122:123]
	v_add_f64 v[50:51], v[6:7], v[116:117]
	v_add_f64 v[70:71], v[6:7], v[72:73]
	v_fmac_f64_e32 v[6:7], s[16:17], v[132:133]
	v_fmac_f64_e32 v[4:5], s[0:1], v[114:115]
	;; [unrolled: 1-line block ×3, first 2 shown]
	v_add_f64 v[72:73], v[110:111], v[4:5]
	v_fmac_f64_e32 v[6:7], -0.5, v[116:117]
	v_pk_mov_b32 v[4:5], v[72:73], v[72:73] op_sel:[0,1]
	v_fmac_f64_e32 v[6:7], s[0:1], v[112:113]
	v_fmac_f64_e32 v[4:5], -2.0, v[110:111]
	v_add_f64 v[112:113], v[86:87], v[130:131]
	v_add_f64 v[110:111], v[82:83], v[128:129]
	v_add_f64 v[128:129], v[82:83], -v[128:129]
	v_add_f64 v[132:133], v[84:85], v[126:127]
	v_add_f64 v[122:123], v[78:79], v[124:125]
	;; [unrolled: 1-line block ×3, first 2 shown]
	v_add_f64 v[130:131], v[86:87], -v[130:131]
	v_add_f64 v[124:125], v[78:79], -v[124:125]
	;; [unrolled: 1-line block ×3, first 2 shown]
	v_mul_f64 v[78:79], v[128:129], s[28:29]
	v_fma_f64 v[76:77], s[16:17], v[112:113], v[0:1]
	v_add_f64 v[116:117], v[80:81], v[120:121]
	v_add_f64 v[126:127], v[84:85], -v[126:127]
	v_add_f64 v[134:135], v[80:81], -v[120:121]
	v_mul_f64 v[80:81], v[130:131], s[28:29]
	v_fmac_f64_e32 v[78:79], s[20:21], v[124:125]
	v_fma_f64 v[82:83], s[16:17], v[110:111], v[2:3]
	v_fmac_f64_e32 v[76:77], s[14:15], v[132:133]
	v_fmac_f64_e32 v[80:81], s[20:21], v[126:127]
	;; [unrolled: 1-line block ×3, first 2 shown]
	v_add_f64 v[140:141], v[102:103], -v[104:105]
	v_fmac_f64_e32 v[82:83], s[14:15], v[122:123]
	v_fmac_f64_e32 v[76:77], -0.5, v[116:117]
	v_add_f64 v[120:121], v[100:101], v[106:107]
	v_fmac_f64_e32 v[80:81], s[18:19], v[134:135]
	v_add_f64 v[138:139], v[100:101], -v[106:107]
	v_fmac_f64_e32 v[78:79], s[22:23], v[140:141]
	v_fmac_f64_e32 v[82:83], -0.5, v[114:115]
	v_add_f64 v[118:119], v[102:103], v[104:105]
	v_fmac_f64_e32 v[76:77], s[0:1], v[120:121]
	v_fmac_f64_e32 v[80:81], s[22:23], v[138:139]
	;; [unrolled: 1-line block ×3, first 2 shown]
	v_add_f64 v[84:85], v[78:79], v[76:77]
	v_add_f64 v[86:87], v[82:83], -v[80:81]
	v_pk_mov_b32 v[76:77], v[84:85], v[84:85] op_sel:[0,1]
	v_fmac_f64_e32 v[76:77], -2.0, v[78:79]
	v_pk_mov_b32 v[78:79], v[86:87], v[86:87] op_sel:[0,1]
	v_fmac_f64_e32 v[78:79], 2.0, v[80:81]
	v_mul_f64 v[82:83], v[140:141], s[24:25]
	v_fma_f64 v[80:81], s[16:17], v[120:121], v[0:1]
	v_fmac_f64_e32 v[24:25], -0.5, v[154:155]
	v_add_f64 v[154:155], v[90:91], v[146:147]
	v_mul_f64 v[92:93], v[138:139], s[24:25]
	v_fmac_f64_e32 v[82:83], s[20:21], v[128:129]
	v_fma_f64 v[90:91], s[16:17], v[118:119], v[2:3]
	v_fmac_f64_e32 v[80:81], s[14:15], v[112:113]
	v_fmac_f64_e32 v[92:93], s[20:21], v[130:131]
	;; [unrolled: 1-line block ×4, first 2 shown]
	v_fmac_f64_e32 v[80:81], -0.5, v[116:117]
	v_fmac_f64_e32 v[92:93], s[26:27], v[134:135]
	v_fmac_f64_e32 v[82:83], s[22:23], v[124:125]
	v_fmac_f64_e32 v[90:91], -0.5, v[114:115]
	v_fmac_f64_e32 v[80:81], s[0:1], v[132:133]
	v_fmac_f64_e32 v[26:27], -0.5, v[164:165]
	v_add_f64 v[164:165], v[88:89], v[152:153]
	v_fmac_f64_e32 v[92:93], s[22:23], v[126:127]
	v_fmac_f64_e32 v[90:91], s[0:1], v[122:123]
	v_add_f64 v[88:89], v[82:83], v[80:81]
	v_fmac_f64_e32 v[96:97], s[22:23], v[98:99]
	v_add_f64 v[90:91], v[90:91], -v[92:93]
	v_pk_mov_b32 v[80:81], v[88:89], v[88:89] op_sel:[0,1]
	v_add_f64 v[94:95], v[140:141], v[128:129]
	v_mul_f64 v[140:141], v[140:141], s[20:21]
	v_add_f64 v[74:75], v[6:7], -v[96:97]
	v_fmac_f64_e32 v[80:81], -2.0, v[82:83]
	v_pk_mov_b32 v[82:83], v[90:91], v[90:91] op_sel:[0,1]
	v_add_f64 v[98:99], v[94:95], -v[124:125]
	v_fma_f64 v[124:125], v[124:125], s[24:25], -v[140:141]
	v_pk_mov_b32 v[6:7], v[74:75], v[74:75] op_sel:[0,1]
	v_fmac_f64_e32 v[82:83], 2.0, v[92:93]
	v_add_f64 v[92:93], v[138:139], v[130:131]
	v_add_f64 v[146:147], v[132:133], v[112:113]
	v_mul_f64 v[138:139], v[138:139], s[20:21]
	v_fmac_f64_e32 v[124:125], s[18:19], v[136:137]
	v_fmac_f64_e32 v[6:7], 2.0, v[96:97]
	v_add_f64 v[96:97], v[92:93], -v[126:127]
	v_fma_f64 v[126:127], v[126:127], s[24:25], -v[138:139]
	v_fmac_f64_e32 v[124:125], s[22:23], v[128:129]
	v_add_f64 v[128:129], v[116:117], v[146:147]
	v_add_f64 v[152:153], v[122:123], v[110:111]
	v_fmac_f64_e32 v[126:127], s[18:19], v[134:135]
	v_add_f64 v[100:101], v[100:101], v[128:129]
	v_fmac_f64_e32 v[126:127], s[22:23], v[130:131]
	v_add_f64 v[130:131], v[114:115], v[152:153]
	v_add_f64 v[100:101], v[106:107], v[100:101]
	;; [unrolled: 1-line block ×5, first 2 shown]
	v_fmac_f64_e32 v[0:1], s[16:17], v[132:133]
	v_add_f64 v[102:103], v[104:105], v[102:103]
	v_fmac_f64_e32 v[0:1], s[14:15], v[120:121]
	v_add_f64 v[94:95], v[2:3], v[114:115]
	v_add_f64 v[102:103], v[2:3], v[102:103]
	v_fmac_f64_e32 v[2:3], s[16:17], v[122:123]
	v_fmac_f64_e32 v[0:1], -0.5, v[116:117]
	v_fmac_f64_e32 v[2:3], s[14:15], v[118:119]
	v_fmac_f64_e32 v[0:1], s[0:1], v[112:113]
	v_fmac_f64_e32 v[2:3], -0.5, v[114:115]
	v_add_f64 v[104:105], v[124:125], v[0:1]
	v_fmac_f64_e32 v[2:3], s[0:1], v[110:111]
	v_pk_mov_b32 v[0:1], v[104:105], v[104:105] op_sel:[0,1]
	v_lshlrev_b32_e32 v110, 5, v184
	v_fmac_f64_e32 v[0:1], -2.0, v[124:125]
	v_add_co_u32_e64 v112, s[0:1], s4, v110
	v_mov_b32_e32 v124, s5
	v_fmac_f64_e32 v[24:25], s[18:19], v[22:23]
	v_fmac_f64_e32 v[26:27], s[26:27], v[20:21]
	v_fmac_f64_e32 v[48:49], -0.5, v[154:155]
	v_fmac_f64_e32 v[50:51], -0.5, v[164:165]
	v_add_f64 v[154:155], v[120:121], v[146:147]
	v_add_f64 v[164:165], v[118:119], v[152:153]
	v_addc_co_u32_e64 v113, s[0:1], 0, v124, s[0:1]
	s_movk_i32 s5, 0x1ba0
	v_mul_f64 v[142:143], v[20:21], s[18:19]
	v_mul_f64 v[144:145], v[22:23], s[18:19]
	v_pk_mov_b32 v[20:21], v[24:25], v[24:25] op_sel:[0,1]
	v_pk_mov_b32 v[22:23], v[26:27], v[26:27] op_sel:[0,1]
	v_fmac_f64_e32 v[48:49], s[18:19], v[62:63]
	v_fmac_f64_e32 v[50:51], s[26:27], v[60:61]
	v_fmac_f64_e32 v[92:93], -0.5, v[154:155]
	v_fmac_f64_e32 v[94:95], -0.5, v[164:165]
	v_add_co_u32_e64 v110, s[0:1], s5, v112
	v_fmac_f64_e32 v[20:21], -2.0, v[144:145]
	v_fmac_f64_e32 v[22:23], 2.0, v[142:143]
	v_mul_f64 v[142:143], v[60:61], s[18:19]
	v_mul_f64 v[144:145], v[62:63], s[18:19]
	v_pk_mov_b32 v[60:61], v[48:49], v[48:49] op_sel:[0,1]
	v_pk_mov_b32 v[62:63], v[50:51], v[50:51] op_sel:[0,1]
	v_fmac_f64_e32 v[92:93], s[18:19], v[98:99]
	v_fmac_f64_e32 v[94:95], s[26:27], v[96:97]
	v_add_f64 v[106:107], v[2:3], -v[126:127]
	v_addc_co_u32_e64 v111, s[0:1], 0, v113, s[0:1]
	s_movk_i32 s14, 0x1000
	v_fmac_f64_e32 v[60:61], -2.0, v[144:145]
	v_fmac_f64_e32 v[62:63], 2.0, v[142:143]
	v_mul_f64 v[142:143], v[96:97], s[18:19]
	v_mul_f64 v[144:145], v[98:99], s[18:19]
	v_pk_mov_b32 v[96:97], v[92:93], v[92:93] op_sel:[0,1]
	v_pk_mov_b32 v[98:99], v[94:95], v[94:95] op_sel:[0,1]
	;; [unrolled: 1-line block ×3, first 2 shown]
	v_add_co_u32_e64 v112, s[0:1], s14, v112
	v_fmac_f64_e32 v[96:97], -2.0, v[144:145]
	v_fmac_f64_e32 v[98:99], 2.0, v[142:143]
	v_fmac_f64_e32 v[2:3], 2.0, v[126:127]
	v_addc_co_u32_e64 v113, s[0:1], 0, v113, s[0:1]
	ds_write_b128 v236, v[64:67]
	ds_write_b128 v236, v[32:35] offset:816
	ds_write_b128 v236, v[28:31] offset:1632
	;; [unrolled: 1-line block ×26, first 2 shown]
	s_waitcnt lgkmcnt(0)
	; wave barrier
	s_waitcnt lgkmcnt(0)
	ds_read_b128 v[104:107], v236
	ds_read_b128 v[84:87], v236 offset:7344
	ds_read_b128 v[80:83], v236 offset:14688
	;; [unrolled: 1-line block ×26, first 2 shown]
	global_load_dwordx4 v[116:119], v[112:113], off offset:2976
	s_nop 0
	global_load_dwordx4 v[112:115], v[110:111], off offset:16
	s_waitcnt vmcnt(1) lgkmcnt(14)
	v_mul_f64 v[110:111], v[86:87], v[118:119]
	v_fma_f64 v[110:111], v[84:85], v[116:117], -v[110:111]
	v_mul_f64 v[84:85], v[84:85], v[118:119]
	v_fmac_f64_e32 v[84:85], v[86:87], v[116:117]
	s_waitcnt vmcnt(0)
	v_mul_f64 v[86:87], v[82:83], v[114:115]
	v_fma_f64 v[86:87], v[80:81], v[112:113], -v[86:87]
	v_mul_f64 v[80:81], v[80:81], v[114:115]
	v_fmac_f64_e32 v[80:81], v[82:83], v[112:113]
	v_lshlrev_b32_e32 v82, 5, v108
	v_accvgpr_write_b32 a217, v115
	v_add_co_u32_e64 v108, s[0:1], s4, v82
	v_accvgpr_write_b32 a216, v114
	v_accvgpr_write_b32 a215, v113
	;; [unrolled: 1-line block ×3, first 2 shown]
	v_addc_co_u32_e64 v113, s[0:1], 0, v124, s[0:1]
	v_add_co_u32_e64 v82, s[0:1], s5, v108
	v_addc_co_u32_e64 v83, s[0:1], 0, v113, s[0:1]
	v_add_co_u32_e64 v112, s[0:1], s14, v108
	v_accvgpr_write_b32 a221, v119
	v_addc_co_u32_e64 v113, s[0:1], 0, v113, s[0:1]
	v_accvgpr_write_b32 a220, v118
	v_accvgpr_write_b32 a219, v117
	;; [unrolled: 1-line block ×3, first 2 shown]
	global_load_dwordx4 v[116:119], v[112:113], off offset:2976
	s_nop 0
	global_load_dwordx4 v[112:115], v[82:83], off offset:16
	s_waitcnt vmcnt(1)
	v_mul_f64 v[82:83], v[78:79], v[118:119]
	v_fma_f64 v[82:83], v[76:77], v[116:117], -v[82:83]
	v_mul_f64 v[76:77], v[76:77], v[118:119]
	v_fmac_f64_e32 v[76:77], v[78:79], v[116:117]
	s_waitcnt vmcnt(0)
	v_mul_f64 v[78:79], v[74:75], v[114:115]
	v_fma_f64 v[78:79], v[72:73], v[112:113], -v[78:79]
	v_mul_f64 v[72:73], v[72:73], v[114:115]
	v_fmac_f64_e32 v[72:73], v[74:75], v[112:113]
	v_lshlrev_b32_e32 v74, 5, v109
	v_add_co_u32_e64 v108, s[0:1], s4, v74
	v_addc_co_u32_e64 v109, s[0:1], 0, v124, s[0:1]
	v_add_co_u32_e64 v74, s[0:1], s5, v108
	v_addc_co_u32_e64 v75, s[0:1], 0, v109, s[0:1]
	v_add_co_u32_e64 v108, s[0:1], s14, v108
	v_accvgpr_write_b32 a229, v119
	v_accvgpr_write_b32 a225, v115
	v_addc_co_u32_e64 v109, s[0:1], 0, v109, s[0:1]
	v_accvgpr_write_b32 a228, v118
	v_accvgpr_write_b32 a227, v117
	;; [unrolled: 1-line block ×6, first 2 shown]
	global_load_dwordx4 v[112:115], v[108:109], off offset:2976
	global_load_dwordx4 v[116:119], v[74:75], off offset:16
	s_waitcnt vmcnt(1)
	v_mul_f64 v[74:75], v[6:7], v[114:115]
	v_fma_f64 v[74:75], v[4:5], v[112:113], -v[74:75]
	v_mul_f64 v[108:109], v[4:5], v[114:115]
	v_accvgpr_write_b32 a233, v115
	s_waitcnt vmcnt(0)
	v_mul_f64 v[4:5], v[2:3], v[118:119]
	v_accvgpr_write_b32 a232, v114
	v_accvgpr_write_b32 a231, v113
	;; [unrolled: 1-line block ×3, first 2 shown]
	v_fmac_f64_e32 v[108:109], v[6:7], v[112:113]
	v_fma_f64 v[112:113], v[0:1], v[116:117], -v[4:5]
	v_mul_f64 v[114:115], v[0:1], v[118:119]
	v_lshlrev_b32_e32 v0, 5, v173
	v_add_co_u32_e64 v0, s[0:1], s4, v0
	v_addc_co_u32_e64 v1, s[0:1], 0, v124, s[0:1]
	v_add_co_u32_e64 v4, s[0:1], s5, v0
	v_addc_co_u32_e64 v5, s[0:1], 0, v1, s[0:1]
	;; [unrolled: 2-line block ×3, first 2 shown]
	v_fmac_f64_e32 v[114:115], v[2:3], v[116:117]
	global_load_dwordx4 v[0:3], v[0:1], off offset:2976
	s_nop 0
	global_load_dwordx4 v[4:7], v[4:5], off offset:16
	v_accvgpr_write_b32 a237, v119
	v_accvgpr_write_b32 a236, v118
	;; [unrolled: 1-line block ×4, first 2 shown]
	s_waitcnt vmcnt(1)
	v_mul_f64 v[116:117], v[14:15], v[2:3]
	v_mul_f64 v[118:119], v[12:13], v[2:3]
	v_accvgpr_write_b32 a241, v3
	v_fma_f64 v[116:117], v[12:13], v[0:1], -v[116:117]
	v_accvgpr_write_b32 a240, v2
	v_accvgpr_write_b32 a239, v1
	;; [unrolled: 1-line block ×3, first 2 shown]
	v_fmac_f64_e32 v[118:119], v[14:15], v[0:1]
	v_lshlrev_b32_e32 v0, 5, v172
	v_add_co_u32_e64 v0, s[0:1], s4, v0
	s_waitcnt vmcnt(0)
	v_mul_f64 v[12:13], v[10:11], v[6:7]
	v_addc_co_u32_e64 v1, s[0:1], 0, v124, s[0:1]
	v_fma_f64 v[120:121], v[8:9], v[4:5], -v[12:13]
	v_add_co_u32_e64 v12, s[0:1], s5, v0
	v_addc_co_u32_e64 v13, s[0:1], 0, v1, s[0:1]
	v_mul_f64 v[122:123], v[8:9], v[6:7]
	v_add_co_u32_e64 v8, s[0:1], s14, v0
	v_accvgpr_write_b32 a245, v7
	v_addc_co_u32_e64 v9, s[0:1], 0, v1, s[0:1]
	v_accvgpr_write_b32 a244, v6
	v_accvgpr_write_b32 a243, v5
	;; [unrolled: 1-line block ×3, first 2 shown]
	v_fmac_f64_e32 v[122:123], v[10:11], v[4:5]
	global_load_dwordx4 v[0:3], v[8:9], off offset:2976
	global_load_dwordx4 v[4:7], v[12:13], off offset:16
	s_waitcnt vmcnt(1) lgkmcnt(13)
	v_mul_f64 v[126:127], v[22:23], v[2:3]
	v_mul_f64 v[174:175], v[20:21], v[2:3]
	v_accvgpr_write_b32 a249, v3
	v_fma_f64 v[172:173], v[20:21], v[0:1], -v[126:127]
	v_accvgpr_write_b32 a248, v2
	v_accvgpr_write_b32 a247, v1
	;; [unrolled: 1-line block ×3, first 2 shown]
	v_fmac_f64_e32 v[174:175], v[22:23], v[0:1]
	v_lshlrev_b32_e32 v0, 5, v188
	v_add_co_u32_e64 v0, s[0:1], s4, v0
	s_waitcnt vmcnt(0) lgkmcnt(12)
	v_mul_f64 v[20:21], v[18:19], v[6:7]
	v_addc_co_u32_e64 v1, s[0:1], 0, v124, s[0:1]
	v_fma_f64 v[184:185], v[16:17], v[4:5], -v[20:21]
	v_mul_f64 v[186:187], v[16:17], v[6:7]
	v_add_co_u32_e64 v16, s[0:1], s5, v0
	v_addc_co_u32_e64 v17, s[0:1], 0, v1, s[0:1]
	v_fmac_f64_e32 v[186:187], v[18:19], v[4:5]
	v_add_co_u32_e64 v18, s[0:1], s14, v0
	v_accvgpr_write_b32 a253, v7
	v_addc_co_u32_e64 v19, s[0:1], 0, v1, s[0:1]
	v_accvgpr_write_b32 a252, v6
	v_accvgpr_write_b32 a251, v5
	;; [unrolled: 1-line block ×3, first 2 shown]
	global_load_dwordx4 v[4:7], v[18:19], off offset:2976
	global_load_dwordx4 v[0:3], v[16:17], off offset:16
	s_waitcnt vmcnt(1) lgkmcnt(10)
	v_mul_f64 v[126:127], v[30:31], v[6:7]
	v_fma_f64 v[188:189], v[28:29], v[4:5], -v[126:127]
	v_mul_f64 v[190:191], v[28:29], v[6:7]
	s_waitcnt vmcnt(0) lgkmcnt(9)
	v_mul_f64 v[28:29], v[26:27], v[2:3]
	v_mul_f64 v[208:209], v[24:25], v[2:3]
	v_accvgpr_write_b32 a179, v3
	v_fma_f64 v[206:207], v[24:25], v[0:1], -v[28:29]
	v_accvgpr_write_b32 a178, v2
	v_accvgpr_write_b32 a177, v1
	;; [unrolled: 1-line block ×3, first 2 shown]
	v_fmac_f64_e32 v[208:209], v[26:27], v[0:1]
	v_lshlrev_b32_e32 v0, 5, v204
	v_add_co_u32_e64 v0, s[0:1], s4, v0
	v_addc_co_u32_e64 v1, s[0:1], 0, v124, s[0:1]
	v_add_co_u32_e64 v24, s[0:1], s5, v0
	v_addc_co_u32_e64 v25, s[0:1], 0, v1, s[0:1]
	v_add_co_u32_e64 v26, s[0:1], s14, v0
	v_accvgpr_write_b32 a41, v7
	v_addc_co_u32_e64 v27, s[0:1], 0, v1, s[0:1]
	v_accvgpr_write_b32 a40, v6
	v_accvgpr_write_b32 a39, v5
	;; [unrolled: 1-line block ×3, first 2 shown]
	v_fmac_f64_e32 v[190:191], v[30:31], v[4:5]
	global_load_dwordx4 v[4:7], v[26:27], off offset:2976
	global_load_dwordx4 v[0:3], v[24:25], off offset:16
	s_waitcnt vmcnt(1) lgkmcnt(7)
	v_mul_f64 v[126:127], v[38:39], v[6:7]
	v_fma_f64 v[204:205], v[36:37], v[4:5], -v[126:127]
	v_mul_f64 v[210:211], v[36:37], v[6:7]
	s_waitcnt vmcnt(0) lgkmcnt(6)
	v_mul_f64 v[36:37], v[34:35], v[2:3]
	v_mul_f64 v[214:215], v[32:33], v[2:3]
	v_accvgpr_write_b32 a37, v3
	v_fma_f64 v[212:213], v[32:33], v[0:1], -v[36:37]
	v_accvgpr_write_b32 a36, v2
	v_accvgpr_write_b32 a35, v1
	v_accvgpr_write_b32 a34, v0
	v_fmac_f64_e32 v[214:215], v[34:35], v[0:1]
	v_lshlrev_b32_e32 v0, 5, v203
	v_add_co_u32_e64 v0, s[0:1], s4, v0
	v_addc_co_u32_e64 v1, s[0:1], 0, v124, s[0:1]
	v_add_co_u32_e64 v32, s[0:1], s5, v0
	v_addc_co_u32_e64 v33, s[0:1], 0, v1, s[0:1]
	;; [unrolled: 2-line block ×3, first 2 shown]
	v_fmac_f64_e32 v[210:211], v[38:39], v[4:5]
	global_load_dwordx4 v[36:39], v[34:35], off offset:2976
	s_nop 0
	global_load_dwordx4 v[32:35], v[32:33], off offset:16
	v_lshlrev_b32_e32 v0, 5, v202
	v_add_co_u32_e64 v0, s[0:1], s4, v0
	v_addc_co_u32_e64 v1, s[0:1], 0, v124, s[0:1]
	v_accvgpr_write_b32 a25, v7
	v_accvgpr_write_b32 a24, v6
	;; [unrolled: 1-line block ×4, first 2 shown]
	s_waitcnt vmcnt(1) lgkmcnt(4)
	v_mul_f64 v[126:127], v[46:47], v[38:39]
	v_fma_f64 v[216:217], v[44:45], v[36:37], -v[126:127]
	v_mul_f64 v[218:219], v[44:45], v[38:39]
	s_waitcnt vmcnt(0) lgkmcnt(3)
	v_mul_f64 v[44:45], v[42:43], v[34:35]
	v_fma_f64 v[220:221], v[40:41], v[32:33], -v[44:45]
	v_mul_f64 v[222:223], v[40:41], v[34:35]
	v_add_co_u32_e64 v40, s[0:1], s5, v0
	v_addc_co_u32_e64 v41, s[0:1], 0, v1, s[0:1]
	v_fmac_f64_e32 v[222:223], v[42:43], v[32:33]
	v_add_co_u32_e64 v42, s[0:1], s14, v0
	v_addc_co_u32_e64 v43, s[0:1], 0, v1, s[0:1]
	v_fmac_f64_e32 v[218:219], v[46:47], v[36:37]
	global_load_dwordx4 v[44:47], v[42:43], off offset:2976
	s_nop 0
	global_load_dwordx4 v[40:43], v[40:41], off offset:16
	s_movk_i32 s0, 0x5610
	s_waitcnt vmcnt(1) lgkmcnt(1)
	v_mul_f64 v[124:125], v[70:71], v[46:47]
	v_fma_f64 v[202:203], v[68:69], v[44:45], -v[124:125]
	v_mul_f64 v[224:225], v[68:69], v[46:47]
	s_waitcnt vmcnt(0) lgkmcnt(0)
	v_mul_f64 v[68:69], v[66:67], v[42:43]
	v_fma_f64 v[226:227], v[64:65], v[40:41], -v[68:69]
	v_mul_f64 v[228:229], v[64:65], v[42:43]
	v_add_f64 v[64:65], v[104:105], v[110:111]
	v_add_f64 v[164:165], v[64:65], v[86:87]
	v_add_f64 v[64:65], v[110:111], v[86:87]
	v_fmac_f64_e32 v[104:105], -0.5, v[64:65]
	v_add_f64 v[64:65], v[84:85], -v[80:81]
	v_fma_f64 v[144:145], s[6:7], v[64:65], v[104:105]
	v_fmac_f64_e32 v[104:105], s[12:13], v[64:65]
	v_add_f64 v[64:65], v[106:107], v[84:85]
	v_add_f64 v[166:167], v[64:65], v[80:81]
	v_add_f64 v[64:65], v[84:85], v[80:81]
	v_fmac_f64_e32 v[106:107], -0.5, v[64:65]
	v_add_f64 v[64:65], v[110:111], -v[86:87]
	v_fma_f64 v[146:147], s[12:13], v[64:65], v[106:107]
	v_fmac_f64_e32 v[106:107], s[6:7], v[64:65]
	;; [unrolled: 7-line block ×11, first 2 shown]
	v_add_f64 v[64:65], v[50:51], v[190:191]
	v_add_f64 v[114:115], v[64:65], v[208:209]
	;; [unrolled: 1-line block ×3, first 2 shown]
	v_fmac_f64_e32 v[228:229], v[66:67], v[40:41]
	v_fmac_f64_e32 v[50:51], -0.5, v[64:65]
	v_add_f64 v[64:65], v[188:189], -v[206:207]
	v_add_f64 v[66:67], v[204:205], v[212:213]
	v_fmac_f64_e32 v[224:225], v[70:71], v[44:45]
	v_fma_f64 v[110:111], s[12:13], v[64:65], v[50:51]
	v_fmac_f64_e32 v[50:51], s[6:7], v[64:65]
	v_add_f64 v[64:65], v[52:53], v[204:205]
	v_fmac_f64_e32 v[52:53], -0.5, v[66:67]
	v_add_f64 v[66:67], v[210:211], -v[214:215]
	v_add_f64 v[70:71], v[210:211], v[214:215]
	v_fma_f64 v[4:5], s[6:7], v[66:67], v[52:53]
	v_fmac_f64_e32 v[52:53], s[12:13], v[66:67]
	v_add_f64 v[66:67], v[54:55], v[210:211]
	v_fmac_f64_e32 v[54:55], -0.5, v[70:71]
	v_add_f64 v[72:73], v[204:205], -v[212:213]
	v_add_f64 v[74:75], v[216:217], v[220:221]
	;; [unrolled: 6-line block ×6, first 2 shown]
	v_add_f64 v[2:3], v[66:67], v[214:215]
	v_add_f64 v[8:9], v[72:73], v[220:221]
	;; [unrolled: 1-line block ×5, first 2 shown]
	v_fma_f64 v[22:23], s[12:13], v[172:173], v[62:63]
	v_fmac_f64_e32 v[62:63], s[6:7], v[172:173]
	ds_write_b128 v236, v[164:167]
	ds_write_b128 v236, v[144:147] offset:7344
	ds_write_b128 v236, v[104:107] offset:14688
	;; [unrolled: 1-line block ×26, first 2 shown]
	v_add_co_u32_e64 v92, s[0:1], s0, v200
	v_addc_co_u32_e64 v93, s[0:1], 0, v201, s[0:1]
	s_movk_i32 s6, 0x5000
	v_add_co_u32_e64 v94, s[0:1], s6, v200
	v_addc_co_u32_e64 v95, s[0:1], 0, v201, s[0:1]
	s_waitcnt lgkmcnt(0)
	; wave barrier
	s_waitcnt lgkmcnt(0)
	global_load_dwordx4 v[94:97], v[94:95], off offset:1552
	ds_read_b128 v[88:91], v236
	s_movk_i32 s0, 0x6000
	v_add_co_u32_e64 v102, s[0:1], s0, v200
	v_addc_co_u32_e64 v103, s[0:1], 0, v201, s[0:1]
	s_movk_i32 s0, 0x7000
	s_waitcnt vmcnt(0) lgkmcnt(0)
	v_mul_f64 v[98:99], v[90:91], v[96:97]
	v_mul_f64 v[100:101], v[88:89], v[96:97]
	v_fma_f64 v[98:99], v[88:89], v[94:95], -v[98:99]
	v_fmac_f64_e32 v[100:101], v[90:91], v[94:95]
	global_load_dwordx4 v[94:97], v[92:93], off offset:1296
	ds_read_b128 v[88:91], v236 offset:1296
	ds_write_b128 v236, v[98:101]
	s_waitcnt vmcnt(0) lgkmcnt(1)
	v_mul_f64 v[98:99], v[90:91], v[96:97]
	v_mul_f64 v[100:101], v[88:89], v[96:97]
	v_fma_f64 v[98:99], v[88:89], v[94:95], -v[98:99]
	v_fmac_f64_e32 v[100:101], v[90:91], v[94:95]
	global_load_dwordx4 v[94:97], v[92:93], off offset:2592
	ds_read_b128 v[88:91], v236 offset:2592
	ds_write_b128 v236, v[98:101] offset:1296
	s_waitcnt vmcnt(0) lgkmcnt(1)
	v_mul_f64 v[98:99], v[90:91], v[96:97]
	v_mul_f64 v[100:101], v[88:89], v[96:97]
	v_fma_f64 v[98:99], v[88:89], v[94:95], -v[98:99]
	v_fmac_f64_e32 v[100:101], v[90:91], v[94:95]
	global_load_dwordx4 v[94:97], v[92:93], off offset:3888
	ds_read_b128 v[88:91], v236 offset:3888
	ds_write_b128 v236, v[98:101] offset:2592
	;; [unrolled: 8-line block ×3, first 2 shown]
	s_waitcnt vmcnt(0) lgkmcnt(1)
	v_mul_f64 v[98:99], v[90:91], v[96:97]
	v_mul_f64 v[100:101], v[88:89], v[96:97]
	v_fma_f64 v[98:99], v[88:89], v[94:95], -v[98:99]
	v_fmac_f64_e32 v[100:101], v[90:91], v[94:95]
	global_load_dwordx4 v[94:97], v[102:103], off offset:3936
	ds_read_b128 v[88:91], v236 offset:6480
	v_add_co_u32_e64 v102, s[0:1], s0, v200
	ds_write_b128 v236, v[98:101] offset:5184
	v_addc_co_u32_e64 v103, s[0:1], 0, v201, s[0:1]
	s_mov_b32 s0, 0x8000
	s_waitcnt vmcnt(0) lgkmcnt(1)
	v_mul_f64 v[98:99], v[90:91], v[96:97]
	v_mul_f64 v[100:101], v[88:89], v[96:97]
	v_fma_f64 v[98:99], v[88:89], v[94:95], -v[98:99]
	v_fmac_f64_e32 v[100:101], v[90:91], v[94:95]
	global_load_dwordx4 v[94:97], v[102:103], off offset:1136
	ds_read_b128 v[88:91], v236 offset:7776
	ds_write_b128 v236, v[98:101] offset:6480
	s_waitcnt vmcnt(0) lgkmcnt(1)
	v_mul_f64 v[98:99], v[90:91], v[96:97]
	v_mul_f64 v[100:101], v[88:89], v[96:97]
	v_fma_f64 v[98:99], v[88:89], v[94:95], -v[98:99]
	v_fmac_f64_e32 v[100:101], v[90:91], v[94:95]
	global_load_dwordx4 v[94:97], v[102:103], off offset:2432
	ds_read_b128 v[88:91], v236 offset:9072
	ds_write_b128 v236, v[98:101] offset:7776
	s_waitcnt vmcnt(0) lgkmcnt(1)
	v_mul_f64 v[98:99], v[90:91], v[96:97]
	v_mul_f64 v[100:101], v[88:89], v[96:97]
	v_fma_f64 v[98:99], v[88:89], v[94:95], -v[98:99]
	v_fmac_f64_e32 v[100:101], v[90:91], v[94:95]
	global_load_dwordx4 v[94:97], v[102:103], off offset:3728
	ds_read_b128 v[88:91], v236 offset:10368
	v_add_co_u32_e64 v102, s[0:1], s0, v200
	ds_write_b128 v236, v[98:101] offset:9072
	v_addc_co_u32_e64 v103, s[0:1], 0, v201, s[0:1]
	s_mov_b32 s0, 0x9000
	s_waitcnt vmcnt(0) lgkmcnt(1)
	v_mul_f64 v[98:99], v[90:91], v[96:97]
	v_mul_f64 v[100:101], v[88:89], v[96:97]
	v_fma_f64 v[98:99], v[88:89], v[94:95], -v[98:99]
	v_fmac_f64_e32 v[100:101], v[90:91], v[94:95]
	global_load_dwordx4 v[94:97], v[102:103], off offset:928
	ds_read_b128 v[88:91], v236 offset:11664
	ds_write_b128 v236, v[98:101] offset:10368
	s_waitcnt vmcnt(0) lgkmcnt(1)
	v_mul_f64 v[98:99], v[90:91], v[96:97]
	v_mul_f64 v[100:101], v[88:89], v[96:97]
	v_fma_f64 v[98:99], v[88:89], v[94:95], -v[98:99]
	v_fmac_f64_e32 v[100:101], v[90:91], v[94:95]
	global_load_dwordx4 v[94:97], v[102:103], off offset:2224
	ds_read_b128 v[88:91], v236 offset:12960
	ds_write_b128 v236, v[98:101] offset:11664
	;; [unrolled: 27-line block ×3, first 2 shown]
	s_waitcnt vmcnt(0) lgkmcnt(1)
	v_mul_f64 v[98:99], v[90:91], v[96:97]
	v_mul_f64 v[100:101], v[88:89], v[96:97]
	v_fma_f64 v[98:99], v[88:89], v[94:95], -v[98:99]
	v_fmac_f64_e32 v[100:101], v[90:91], v[94:95]
	global_load_dwordx4 v[94:97], v[102:103], off offset:3312
	ds_read_b128 v[88:91], v236 offset:18144
	v_add_co_u32_e64 v102, s[0:1], s0, v200
	ds_write_b128 v236, v[98:101] offset:16848
	v_addc_co_u32_e64 v103, s[0:1], 0, v201, s[0:1]
	s_waitcnt vmcnt(0) lgkmcnt(1)
	v_mul_f64 v[98:99], v[90:91], v[96:97]
	v_mul_f64 v[100:101], v[88:89], v[96:97]
	v_fma_f64 v[98:99], v[88:89], v[94:95], -v[98:99]
	v_fmac_f64_e32 v[100:101], v[90:91], v[94:95]
	global_load_dwordx4 v[94:97], v[102:103], off offset:512
	ds_read_b128 v[88:91], v236 offset:19440
	ds_write_b128 v236, v[98:101] offset:18144
	s_waitcnt vmcnt(0) lgkmcnt(1)
	v_mul_f64 v[98:99], v[90:91], v[96:97]
	v_mul_f64 v[100:101], v[88:89], v[96:97]
	v_fma_f64 v[98:99], v[88:89], v[94:95], -v[98:99]
	v_fmac_f64_e32 v[100:101], v[90:91], v[94:95]
	global_load_dwordx4 v[94:97], v[102:103], off offset:1808
	ds_read_b128 v[88:91], v236 offset:20736
	ds_write_b128 v236, v[98:101] offset:19440
	s_waitcnt vmcnt(0) lgkmcnt(1)
	v_mul_f64 v[98:99], v[90:91], v[96:97]
	v_mul_f64 v[100:101], v[88:89], v[96:97]
	v_fma_f64 v[98:99], v[88:89], v[94:95], -v[98:99]
	v_fmac_f64_e32 v[100:101], v[90:91], v[94:95]
	ds_write_b128 v236, v[98:101] offset:20736
	s_and_saveexec_b64 s[4:5], vcc
	s_cbranch_execz .LBB0_9
; %bb.8:
	global_load_dwordx4 v[94:97], v[92:93], off offset:816
	ds_read_b128 v[88:91], v236 offset:816
	v_add_co_u32_e64 v102, s[0:1], s14, v92
	v_addc_co_u32_e64 v103, s[0:1], 0, v93, s[0:1]
	s_movk_i32 s0, 0x2000
	s_waitcnt vmcnt(0) lgkmcnt(0)
	v_mul_f64 v[98:99], v[90:91], v[96:97]
	v_mul_f64 v[100:101], v[88:89], v[96:97]
	v_fma_f64 v[98:99], v[88:89], v[94:95], -v[98:99]
	v_fmac_f64_e32 v[100:101], v[90:91], v[94:95]
	global_load_dwordx4 v[94:97], v[92:93], off offset:2112
	ds_read_b128 v[88:91], v236 offset:2112
	ds_write_b128 v236, v[98:101] offset:816
	s_waitcnt vmcnt(0) lgkmcnt(1)
	v_mul_f64 v[98:99], v[90:91], v[96:97]
	v_mul_f64 v[100:101], v[88:89], v[96:97]
	v_fma_f64 v[98:99], v[88:89], v[94:95], -v[98:99]
	v_fmac_f64_e32 v[100:101], v[90:91], v[94:95]
	global_load_dwordx4 v[94:97], v[92:93], off offset:3408
	ds_read_b128 v[88:91], v236 offset:3408
	ds_write_b128 v236, v[98:101] offset:2112
	;; [unrolled: 8-line block ×4, first 2 shown]
	s_waitcnt vmcnt(0) lgkmcnt(1)
	v_mul_f64 v[98:99], v[90:91], v[96:97]
	v_mul_f64 v[100:101], v[88:89], v[96:97]
	v_fma_f64 v[98:99], v[88:89], v[94:95], -v[98:99]
	v_fmac_f64_e32 v[100:101], v[90:91], v[94:95]
	global_load_dwordx4 v[94:97], v[102:103], off offset:3200
	ds_read_b128 v[88:91], v236 offset:7296
	v_add_co_u32_e64 v102, s[0:1], s0, v92
	ds_write_b128 v236, v[98:101] offset:6000
	v_addc_co_u32_e64 v103, s[0:1], 0, v93, s[0:1]
	s_movk_i32 s0, 0x3000
	s_waitcnt vmcnt(0) lgkmcnt(1)
	v_mul_f64 v[98:99], v[90:91], v[96:97]
	v_mul_f64 v[100:101], v[88:89], v[96:97]
	v_fma_f64 v[98:99], v[88:89], v[94:95], -v[98:99]
	v_fmac_f64_e32 v[100:101], v[90:91], v[94:95]
	global_load_dwordx4 v[94:97], v[102:103], off offset:400
	ds_read_b128 v[88:91], v236 offset:8592
	ds_write_b128 v236, v[98:101] offset:7296
	s_waitcnt vmcnt(0) lgkmcnt(1)
	v_mul_f64 v[98:99], v[90:91], v[96:97]
	v_mul_f64 v[100:101], v[88:89], v[96:97]
	v_fma_f64 v[98:99], v[88:89], v[94:95], -v[98:99]
	v_fmac_f64_e32 v[100:101], v[90:91], v[94:95]
	global_load_dwordx4 v[94:97], v[102:103], off offset:1696
	ds_read_b128 v[88:91], v236 offset:9888
	ds_write_b128 v236, v[98:101] offset:8592
	s_waitcnt vmcnt(0) lgkmcnt(1)
	v_mul_f64 v[98:99], v[90:91], v[96:97]
	v_mul_f64 v[100:101], v[88:89], v[96:97]
	v_fma_f64 v[98:99], v[88:89], v[94:95], -v[98:99]
	v_fmac_f64_e32 v[100:101], v[90:91], v[94:95]
	global_load_dwordx4 v[94:97], v[102:103], off offset:2992
	ds_read_b128 v[88:91], v236 offset:11184
	v_add_co_u32_e64 v102, s[0:1], s0, v92
	ds_write_b128 v236, v[98:101] offset:9888
	v_addc_co_u32_e64 v103, s[0:1], 0, v93, s[0:1]
	s_movk_i32 s0, 0x4000
	s_waitcnt vmcnt(0) lgkmcnt(1)
	v_mul_f64 v[98:99], v[90:91], v[96:97]
	v_mul_f64 v[100:101], v[88:89], v[96:97]
	v_fma_f64 v[98:99], v[88:89], v[94:95], -v[98:99]
	v_fmac_f64_e32 v[100:101], v[90:91], v[94:95]
	global_load_dwordx4 v[94:97], v[102:103], off offset:192
	ds_read_b128 v[88:91], v236 offset:12480
	ds_write_b128 v236, v[98:101] offset:11184
	s_waitcnt vmcnt(0) lgkmcnt(1)
	v_mul_f64 v[98:99], v[90:91], v[96:97]
	v_mul_f64 v[100:101], v[88:89], v[96:97]
	v_fma_f64 v[98:99], v[88:89], v[94:95], -v[98:99]
	v_fmac_f64_e32 v[100:101], v[90:91], v[94:95]
	global_load_dwordx4 v[94:97], v[102:103], off offset:1488
	ds_read_b128 v[88:91], v236 offset:13776
	ds_write_b128 v236, v[98:101] offset:12480
	;; [unrolled: 8-line block ×3, first 2 shown]
	s_waitcnt vmcnt(0) lgkmcnt(1)
	v_mul_f64 v[98:99], v[90:91], v[96:97]
	v_mul_f64 v[100:101], v[88:89], v[96:97]
	v_fma_f64 v[98:99], v[88:89], v[94:95], -v[98:99]
	v_fmac_f64_e32 v[100:101], v[90:91], v[94:95]
	global_load_dwordx4 v[94:97], v[102:103], off offset:4080
	ds_read_b128 v[88:91], v236 offset:16368
	v_add_co_u32_e64 v102, s[0:1], s0, v92
	ds_write_b128 v236, v[98:101] offset:15072
	v_addc_co_u32_e64 v103, s[0:1], 0, v93, s[0:1]
	v_add_co_u32_e64 v92, s[0:1], s6, v92
	v_addc_co_u32_e64 v93, s[0:1], 0, v93, s[0:1]
	s_waitcnt vmcnt(0) lgkmcnt(1)
	v_mul_f64 v[98:99], v[90:91], v[96:97]
	v_mul_f64 v[100:101], v[88:89], v[96:97]
	v_fma_f64 v[98:99], v[88:89], v[94:95], -v[98:99]
	v_fmac_f64_e32 v[100:101], v[90:91], v[94:95]
	global_load_dwordx4 v[94:97], v[102:103], off offset:1280
	ds_read_b128 v[88:91], v236 offset:17664
	ds_write_b128 v236, v[98:101] offset:16368
	s_waitcnt vmcnt(0) lgkmcnt(1)
	v_mul_f64 v[98:99], v[90:91], v[96:97]
	v_mul_f64 v[100:101], v[88:89], v[96:97]
	v_fma_f64 v[98:99], v[88:89], v[94:95], -v[98:99]
	v_fmac_f64_e32 v[100:101], v[90:91], v[94:95]
	global_load_dwordx4 v[94:97], v[102:103], off offset:2576
	ds_read_b128 v[88:91], v236 offset:18960
	ds_write_b128 v236, v[98:101] offset:17664
	;; [unrolled: 8-line block ×4, first 2 shown]
	s_waitcnt vmcnt(0) lgkmcnt(1)
	v_mul_f64 v[96:97], v[90:91], v[94:95]
	v_mul_f64 v[98:99], v[88:89], v[94:95]
	v_fma_f64 v[96:97], v[88:89], v[92:93], -v[96:97]
	v_fmac_f64_e32 v[98:99], v[90:91], v[92:93]
	ds_write_b128 v236, v[96:99] offset:21552
.LBB0_9:
	s_or_b64 exec, exec, s[4:5]
	s_waitcnt lgkmcnt(0)
	; wave barrier
	s_waitcnt lgkmcnt(0)
	ds_read_b128 v[144:147], v236
	ds_read_b128 v[164:167], v236 offset:1296
	ds_read_b128 v[140:143], v236 offset:2592
	;; [unrolled: 1-line block ×16, first 2 shown]
	s_and_saveexec_b64 s[0:1], vcc
	s_cbranch_execz .LBB0_11
; %bb.10:
	ds_read_b128 v[48:51], v236 offset:816
	ds_read_b128 v[0:3], v236 offset:2112
	;; [unrolled: 1-line block ×17, first 2 shown]
.LBB0_11:
	s_or_b64 exec, exec, s[0:1]
	s_waitcnt lgkmcnt(14)
	v_add_f64 v[120:121], v[144:145], v[164:165]
	v_add_f64 v[122:123], v[146:147], v[166:167]
	;; [unrolled: 1-line block ×4, first 2 shown]
	s_waitcnt lgkmcnt(13)
	v_add_f64 v[120:121], v[120:121], v[132:133]
	v_add_f64 v[122:123], v[122:123], v[134:135]
	s_waitcnt lgkmcnt(12)
	v_add_f64 v[120:121], v[120:121], v[124:125]
	v_add_f64 v[122:123], v[122:123], v[126:127]
	;; [unrolled: 3-line block ×11, first 2 shown]
	s_waitcnt lgkmcnt(2)
	v_add_f64 v[120:121], v[120:121], v[136:137]
	s_mov_b32 s6, 0x5d8e7cdc
	s_mov_b32 s14, 0x2a9d6da3
	;; [unrolled: 1-line block ×8, first 2 shown]
	v_add_f64 v[122:123], v[122:123], v[138:139]
	s_waitcnt lgkmcnt(1)
	v_add_f64 v[120:121], v[120:121], v[152:153]
	s_waitcnt lgkmcnt(0)
	v_add_f64 v[186:187], v[166:167], v[174:175]
	v_add_f64 v[166:167], v[166:167], -v[174:175]
	s_mov_b32 s7, 0xbfd71e95
	s_mov_b32 s0, 0x370991
	s_mov_b32 s15, 0xbfe58eea
	s_mov_b32 s4, 0x75d4884
	s_mov_b32 s19, 0xbfeca52d
	s_mov_b32 s12, 0x2b2883cd
	s_mov_b32 s23, 0xbfefdd0d
	s_mov_b32 s16, 0x3259b75e
	s_mov_b32 s27, 0xbfeec746
	s_mov_b32 s20, 0xc61f0d01
	s_mov_b32 s35, 0xbfe9895b
	s_mov_b32 s24, 0x6ed5f1bb
	s_mov_b32 s39, 0xbfe0d888
	s_mov_b32 s28, 0x910ea3b9
	s_mov_b32 s43, 0xbfc7851a
	s_mov_b32 s36, 0x7faef3
	v_add_f64 v[122:123], v[122:123], v[154:155]
	v_add_f64 v[120:121], v[120:121], v[172:173]
	;; [unrolled: 1-line block ×3, first 2 shown]
	v_add_f64 v[164:165], v[164:165], -v[172:173]
	v_mul_f64 v[172:173], v[166:167], s[6:7]
	s_mov_b32 s1, 0x3fedd6d0
	v_mul_f64 v[200:201], v[166:167], s[14:15]
	s_mov_b32 s5, 0x3fe7a5f6
	;; [unrolled: 2-line block ×8, first 2 shown]
	v_add_f64 v[122:123], v[122:123], v[174:175]
	v_fma_f64 v[174:175], s[0:1], v[184:185], v[172:173]
	v_fma_f64 v[172:173], v[184:185], s[0:1], -v[172:173]
	v_fma_f64 v[202:203], s[4:5], v[184:185], v[200:201]
	v_fma_f64 v[200:201], v[184:185], s[4:5], -v[200:201]
	;; [unrolled: 2-line block ×8, first 2 shown]
	v_add_f64 v[174:175], v[144:145], v[174:175]
	v_mul_f64 v[188:189], v[186:187], s[0:1]
	s_mov_b32 s31, 0x3fd71e95
	s_mov_b32 s30, s6
	v_add_f64 v[172:173], v[144:145], v[172:173]
	v_add_f64 v[202:203], v[144:145], v[202:203]
	v_mul_f64 v[204:205], v[186:187], s[4:5]
	s_mov_b32 s47, 0x3fe58eea
	s_mov_b32 s46, s14
	v_add_f64 v[200:201], v[144:145], v[200:201]
	v_add_f64 v[210:211], v[144:145], v[210:211]
	v_mul_f64 v[212:213], v[186:187], s[12:13]
	s_mov_b32 s41, 0x3feca52d
	s_mov_b32 s40, s18
	v_add_f64 v[208:209], v[144:145], v[208:209]
	v_add_f64 v[218:219], v[144:145], v[218:219]
	v_mul_f64 v[220:221], v[186:187], s[16:17]
	s_mov_b32 s55, 0x3fefdd0d
	s_mov_b32 s54, s22
	v_add_f64 v[216:217], v[144:145], v[216:217]
	v_add_f64 v[226:227], v[144:145], v[226:227]
	v_mul_f64 v[228:229], v[186:187], s[20:21]
	s_mov_b32 s45, 0x3feec746
	s_mov_b32 s44, s26
	v_add_f64 v[224:225], v[144:145], v[224:225]
	v_add_f64 v[234:235], v[144:145], v[234:235]
	v_mul_f64 v[240:241], v[186:187], s[24:25]
	s_mov_b32 s53, 0x3fe9895b
	s_mov_b32 s52, s34
	v_add_f64 v[232:233], v[144:145], v[232:233]
	v_add_f64 v[246:247], v[144:145], v[246:247]
	v_mul_f64 v[248:249], v[186:187], s[28:29]
	s_mov_b32 s49, 0x3fe0d888
	s_mov_b32 s48, s38
	v_add_f64 v[244:245], v[144:145], v[244:245]
	v_add_f64 v[252:253], v[144:145], v[252:253]
	v_mul_f64 v[186:187], v[186:187], s[36:37]
	s_mov_b32 s51, 0x3fc7851a
	s_mov_b32 s50, s42
	v_add_f64 v[144:145], v[144:145], v[166:167]
	v_add_f64 v[166:167], v[142:143], v[154:155]
	v_add_f64 v[142:143], v[142:143], -v[154:155]
	v_fma_f64 v[190:191], s[30:31], v[164:165], v[188:189]
	v_fmac_f64_e32 v[188:189], s[6:7], v[164:165]
	v_fma_f64 v[206:207], s[46:47], v[164:165], v[204:205]
	v_fmac_f64_e32 v[204:205], s[14:15], v[164:165]
	;; [unrolled: 2-line block ×8, first 2 shown]
	v_add_f64 v[164:165], v[140:141], v[152:153]
	v_add_f64 v[140:141], v[140:141], -v[152:153]
	v_mul_f64 v[152:153], v[142:143], s[14:15]
	v_fma_f64 v[154:155], s[4:5], v[164:165], v[152:153]
	v_add_f64 v[154:155], v[154:155], v[174:175]
	v_mul_f64 v[174:175], v[166:167], s[4:5]
	v_add_f64 v[188:189], v[146:147], v[188:189]
	v_fma_f64 v[184:185], s[46:47], v[140:141], v[174:175]
	v_fma_f64 v[152:153], v[164:165], s[4:5], -v[152:153]
	v_fmac_f64_e32 v[174:175], s[14:15], v[140:141]
	v_add_f64 v[152:153], v[152:153], v[172:173]
	v_add_f64 v[172:173], v[174:175], v[188:189]
	v_mul_f64 v[174:175], v[142:143], s[22:23]
	v_add_f64 v[190:191], v[146:147], v[190:191]
	v_add_f64 v[206:207], v[146:147], v[206:207]
	v_add_f64 v[204:205], v[146:147], v[204:205]
	v_add_f64 v[214:215], v[146:147], v[214:215]
	v_add_f64 v[212:213], v[146:147], v[212:213]
	v_add_f64 v[222:223], v[146:147], v[222:223]
	v_add_f64 v[220:221], v[146:147], v[220:221]
	v_add_f64 v[230:231], v[146:147], v[230:231]
	v_add_f64 v[228:229], v[146:147], v[228:229]
	v_add_f64 v[242:243], v[146:147], v[242:243]
	v_add_f64 v[240:241], v[146:147], v[240:241]
	v_add_f64 v[250:251], v[146:147], v[250:251]
	v_add_f64 v[248:249], v[146:147], v[248:249]
	v_add_f64 v[254:255], v[146:147], v[254:255]
	v_add_f64 v[146:147], v[146:147], v[186:187]
	v_fma_f64 v[186:187], s[16:17], v[164:165], v[174:175]
	v_mul_f64 v[188:189], v[166:167], s[16:17]
	v_fma_f64 v[174:175], v[164:165], s[16:17], -v[174:175]
	v_add_f64 v[184:185], v[184:185], v[190:191]
	v_fma_f64 v[190:191], s[54:55], v[140:141], v[188:189]
	v_add_f64 v[174:175], v[174:175], v[200:201]
	v_fmac_f64_e32 v[188:189], s[22:23], v[140:141]
	v_mul_f64 v[200:201], v[142:143], s[34:35]
	v_add_f64 v[186:187], v[186:187], v[202:203]
	v_add_f64 v[188:189], v[188:189], v[204:205]
	v_fma_f64 v[202:203], s[24:25], v[164:165], v[200:201]
	v_mul_f64 v[204:205], v[166:167], s[24:25]
	v_fma_f64 v[200:201], v[164:165], s[24:25], -v[200:201]
	v_add_f64 v[190:191], v[190:191], v[206:207]
	v_fma_f64 v[206:207], s[52:53], v[140:141], v[204:205]
	v_add_f64 v[200:201], v[200:201], v[208:209]
	v_fmac_f64_e32 v[204:205], s[34:35], v[140:141]
	v_mul_f64 v[208:209], v[142:143], s[42:43]
	v_add_f64 v[202:203], v[202:203], v[210:211]
	v_add_f64 v[204:205], v[204:205], v[212:213]
	;; [unrolled: 10-line block ×5, first 2 shown]
	v_fma_f64 v[234:235], s[12:13], v[164:165], v[232:233]
	v_mul_f64 v[240:241], v[166:167], s[12:13]
	v_mul_f64 v[166:167], v[166:167], s[0:1]
	v_add_f64 v[234:235], v[234:235], v[246:247]
	v_fma_f64 v[232:233], v[164:165], s[12:13], -v[232:233]
	v_mul_f64 v[142:143], v[142:143], s[30:31]
	v_fma_f64 v[246:247], s[6:7], v[140:141], v[166:167]
	v_fmac_f64_e32 v[166:167], s[30:31], v[140:141]
	v_add_f64 v[230:231], v[230:231], v[242:243]
	v_fma_f64 v[242:243], s[18:19], v[140:141], v[240:241]
	v_add_f64 v[232:233], v[232:233], v[244:245]
	v_fmac_f64_e32 v[240:241], s[40:41], v[140:141]
	v_fma_f64 v[244:245], s[0:1], v[164:165], v[142:143]
	v_fma_f64 v[142:143], v[164:165], s[0:1], -v[142:143]
	v_add_f64 v[140:141], v[166:167], v[146:147]
	v_add_f64 v[146:147], v[134:135], v[138:139]
	v_add_f64 v[134:135], v[134:135], -v[138:139]
	v_add_f64 v[142:143], v[142:143], v[144:145]
	v_add_f64 v[144:145], v[132:133], v[136:137]
	v_add_f64 v[132:133], v[132:133], -v[136:137]
	v_mul_f64 v[136:137], v[134:135], s[18:19]
	v_fma_f64 v[138:139], s[12:13], v[144:145], v[136:137]
	v_add_f64 v[138:139], v[138:139], v[154:155]
	v_mul_f64 v[154:155], v[146:147], s[12:13]
	v_fma_f64 v[164:165], s[40:41], v[132:133], v[154:155]
	v_fma_f64 v[136:137], v[144:145], s[12:13], -v[136:137]
	v_fmac_f64_e32 v[154:155], s[18:19], v[132:133]
	v_add_f64 v[136:137], v[136:137], v[152:153]
	v_add_f64 v[152:153], v[154:155], v[172:173]
	v_mul_f64 v[154:155], v[134:135], s[34:35]
	v_fma_f64 v[166:167], s[24:25], v[144:145], v[154:155]
	v_fma_f64 v[154:155], v[144:145], s[24:25], -v[154:155]
	v_mul_f64 v[172:173], v[146:147], s[24:25]
	v_add_f64 v[154:155], v[154:155], v[174:175]
	v_mul_f64 v[174:175], v[134:135], s[50:51]
	v_add_f64 v[164:165], v[164:165], v[184:185]
	v_add_f64 v[166:167], v[166:167], v[186:187]
	v_fma_f64 v[184:185], s[52:53], v[132:133], v[172:173]
	v_fmac_f64_e32 v[172:173], s[34:35], v[132:133]
	v_fma_f64 v[186:187], s[36:37], v[144:145], v[174:175]
	v_fma_f64 v[174:175], v[144:145], s[36:37], -v[174:175]
	v_add_f64 v[172:173], v[172:173], v[188:189]
	v_mul_f64 v[188:189], v[146:147], s[36:37]
	v_add_f64 v[174:175], v[174:175], v[200:201]
	v_mul_f64 v[200:201], v[134:135], s[44:45]
	v_add_f64 v[184:185], v[184:185], v[190:191]
	v_add_f64 v[186:187], v[186:187], v[202:203]
	v_fma_f64 v[190:191], s[42:43], v[132:133], v[188:189]
	v_fmac_f64_e32 v[188:189], s[50:51], v[132:133]
	v_fma_f64 v[202:203], s[20:21], v[144:145], v[200:201]
	v_fma_f64 v[200:201], v[144:145], s[20:21], -v[200:201]
	v_add_f64 v[188:189], v[188:189], v[204:205]
	v_mul_f64 v[204:205], v[146:147], s[20:21]
	v_add_f64 v[200:201], v[200:201], v[208:209]
	v_mul_f64 v[208:209], v[134:135], s[46:47]
	v_add_f64 v[190:191], v[190:191], v[206:207]
	v_add_f64 v[202:203], v[202:203], v[210:211]
	v_fma_f64 v[206:207], s[26:27], v[132:133], v[204:205]
	v_fmac_f64_e32 v[204:205], s[44:45], v[132:133]
	v_fma_f64 v[210:211], s[4:5], v[144:145], v[208:209]
	v_fma_f64 v[208:209], v[144:145], s[4:5], -v[208:209]
	v_add_f64 v[204:205], v[204:205], v[212:213]
	v_mul_f64 v[212:213], v[146:147], s[4:5]
	v_add_f64 v[208:209], v[208:209], v[216:217]
	v_mul_f64 v[216:217], v[134:135], s[6:7]
	v_add_f64 v[206:207], v[206:207], v[214:215]
	v_add_f64 v[210:211], v[210:211], v[218:219]
	v_fma_f64 v[214:215], s[14:15], v[132:133], v[212:213]
	v_fmac_f64_e32 v[212:213], s[46:47], v[132:133]
	v_fma_f64 v[218:219], s[0:1], v[144:145], v[216:217]
	v_fma_f64 v[216:217], v[144:145], s[0:1], -v[216:217]
	v_add_f64 v[212:213], v[212:213], v[220:221]
	v_mul_f64 v[220:221], v[146:147], s[0:1]
	v_add_f64 v[216:217], v[216:217], v[224:225]
	v_mul_f64 v[224:225], v[134:135], s[22:23]
	v_add_f64 v[214:215], v[214:215], v[222:223]
	v_add_f64 v[218:219], v[218:219], v[226:227]
	v_fma_f64 v[222:223], s[30:31], v[132:133], v[220:221]
	v_fmac_f64_e32 v[220:221], s[6:7], v[132:133]
	v_fma_f64 v[226:227], s[16:17], v[144:145], v[224:225]
	v_fma_f64 v[224:225], v[144:145], s[16:17], -v[224:225]
	v_mul_f64 v[134:135], v[134:135], s[38:39]
	v_add_f64 v[220:221], v[220:221], v[228:229]
	v_mul_f64 v[228:229], v[146:147], s[16:17]
	v_add_f64 v[224:225], v[224:225], v[232:233]
	v_fma_f64 v[232:233], s[28:29], v[144:145], v[134:135]
	v_mul_f64 v[146:147], v[146:147], s[28:29]
	v_fma_f64 v[134:135], v[144:145], s[28:29], -v[134:135]
	v_add_f64 v[226:227], v[226:227], v[234:235]
	v_fma_f64 v[234:235], s[48:49], v[132:133], v[146:147]
	v_add_f64 v[134:135], v[134:135], v[142:143]
	v_fmac_f64_e32 v[146:147], s[38:39], v[132:133]
	v_add_f64 v[142:143], v[126:127], v[130:131]
	v_add_f64 v[126:127], v[126:127], -v[130:131]
	v_add_f64 v[222:223], v[222:223], v[230:231]
	v_fma_f64 v[230:231], s[54:55], v[132:133], v[228:229]
	v_fmac_f64_e32 v[228:229], s[22:23], v[132:133]
	v_add_f64 v[132:133], v[146:147], v[140:141]
	v_add_f64 v[140:141], v[124:125], v[128:129]
	v_add_f64 v[124:125], v[124:125], -v[128:129]
	v_mul_f64 v[128:129], v[126:127], s[22:23]
	v_fma_f64 v[130:131], s[16:17], v[140:141], v[128:129]
	v_add_f64 v[130:131], v[130:131], v[138:139]
	v_mul_f64 v[138:139], v[142:143], s[16:17]
	v_fma_f64 v[144:145], s[54:55], v[124:125], v[138:139]
	v_fma_f64 v[128:129], v[140:141], s[16:17], -v[128:129]
	v_fmac_f64_e32 v[138:139], s[22:23], v[124:125]
	v_add_f64 v[128:129], v[128:129], v[136:137]
	v_add_f64 v[136:137], v[138:139], v[152:153]
	v_mul_f64 v[138:139], v[126:127], s[42:43]
	v_fma_f64 v[146:147], s[36:37], v[140:141], v[138:139]
	v_fma_f64 v[138:139], v[140:141], s[36:37], -v[138:139]
	v_mul_f64 v[152:153], v[142:143], s[36:37]
	v_add_f64 v[138:139], v[138:139], v[154:155]
	v_mul_f64 v[154:155], v[126:127], s[44:45]
	v_add_f64 v[144:145], v[144:145], v[164:165]
	v_add_f64 v[146:147], v[146:147], v[166:167]
	v_fma_f64 v[164:165], s[50:51], v[124:125], v[152:153]
	v_fmac_f64_e32 v[152:153], s[42:43], v[124:125]
	v_fma_f64 v[166:167], s[20:21], v[140:141], v[154:155]
	v_fma_f64 v[154:155], v[140:141], s[20:21], -v[154:155]
	v_add_f64 v[152:153], v[152:153], v[172:173]
	v_mul_f64 v[172:173], v[142:143], s[20:21]
	v_add_f64 v[154:155], v[154:155], v[174:175]
	v_mul_f64 v[174:175], v[126:127], s[30:31]
	v_add_f64 v[164:165], v[164:165], v[184:185]
	v_add_f64 v[166:167], v[166:167], v[186:187]
	v_fma_f64 v[184:185], s[26:27], v[124:125], v[172:173]
	v_fmac_f64_e32 v[172:173], s[44:45], v[124:125]
	v_fma_f64 v[186:187], s[0:1], v[140:141], v[174:175]
	v_fma_f64 v[174:175], v[140:141], s[0:1], -v[174:175]
	v_add_f64 v[172:173], v[172:173], v[188:189]
	;; [unrolled: 10-line block ×4, first 2 shown]
	v_mul_f64 v[212:213], v[142:143], s[28:29]
	v_add_f64 v[208:209], v[208:209], v[216:217]
	v_mul_f64 v[216:217], v[126:127], s[52:53]
	v_add_f64 v[206:207], v[206:207], v[214:215]
	v_add_f64 v[210:211], v[210:211], v[218:219]
	v_fma_f64 v[214:215], s[48:49], v[124:125], v[212:213]
	v_fmac_f64_e32 v[212:213], s[38:39], v[124:125]
	v_fma_f64 v[218:219], s[24:25], v[140:141], v[216:217]
	v_fma_f64 v[216:217], v[140:141], s[24:25], -v[216:217]
	v_mul_f64 v[126:127], v[126:127], s[46:47]
	v_add_f64 v[212:213], v[212:213], v[220:221]
	v_mul_f64 v[220:221], v[142:143], s[24:25]
	v_add_f64 v[216:217], v[216:217], v[224:225]
	v_fma_f64 v[224:225], s[4:5], v[140:141], v[126:127]
	v_mul_f64 v[142:143], v[142:143], s[4:5]
	v_fma_f64 v[126:127], v[140:141], s[4:5], -v[126:127]
	v_add_f64 v[218:219], v[218:219], v[226:227]
	v_fma_f64 v[226:227], s[14:15], v[124:125], v[142:143]
	v_add_f64 v[126:127], v[126:127], v[134:135]
	v_fmac_f64_e32 v[142:143], s[46:47], v[124:125]
	v_add_f64 v[134:135], v[114:115], v[118:119]
	v_add_f64 v[114:115], v[114:115], -v[118:119]
	v_add_f64 v[214:215], v[214:215], v[222:223]
	v_fma_f64 v[222:223], s[34:35], v[124:125], v[220:221]
	v_fmac_f64_e32 v[220:221], s[52:53], v[124:125]
	v_add_f64 v[124:125], v[142:143], v[132:133]
	v_add_f64 v[132:133], v[112:113], v[116:117]
	v_add_f64 v[112:113], v[112:113], -v[116:117]
	v_mul_f64 v[116:117], v[114:115], s[26:27]
	v_fma_f64 v[118:119], s[20:21], v[132:133], v[116:117]
	v_add_f64 v[118:119], v[118:119], v[130:131]
	v_mul_f64 v[130:131], v[134:135], s[20:21]
	v_fma_f64 v[140:141], s[44:45], v[112:113], v[130:131]
	v_fma_f64 v[116:117], v[132:133], s[20:21], -v[116:117]
	v_fmac_f64_e32 v[130:131], s[26:27], v[112:113]
	v_add_f64 v[116:117], v[116:117], v[128:129]
	v_add_f64 v[128:129], v[130:131], v[136:137]
	v_mul_f64 v[130:131], v[114:115], s[48:49]
	v_mul_f64 v[142:143], v[134:135], s[28:29]
	v_add_f64 v[140:141], v[140:141], v[144:145]
	v_fma_f64 v[136:137], s[28:29], v[132:133], v[130:131]
	v_fma_f64 v[144:145], s[38:39], v[112:113], v[142:143]
	v_fma_f64 v[130:131], v[132:133], s[28:29], -v[130:131]
	v_fmac_f64_e32 v[142:143], s[48:49], v[112:113]
	v_add_f64 v[130:131], v[130:131], v[138:139]
	v_add_f64 v[138:139], v[142:143], v[152:153]
	v_mul_f64 v[142:143], v[114:115], s[46:47]
	v_add_f64 v[136:137], v[136:137], v[146:147]
	v_fma_f64 v[146:147], s[4:5], v[132:133], v[142:143]
	v_fma_f64 v[142:143], v[132:133], s[4:5], -v[142:143]
	v_mul_f64 v[152:153], v[134:135], s[4:5]
	v_add_f64 v[142:143], v[142:143], v[154:155]
	v_mul_f64 v[154:155], v[114:115], s[18:19]
	v_add_f64 v[144:145], v[144:145], v[164:165]
	v_add_f64 v[146:147], v[146:147], v[166:167]
	v_fma_f64 v[164:165], s[14:15], v[112:113], v[152:153]
	v_fmac_f64_e32 v[152:153], s[46:47], v[112:113]
	v_fma_f64 v[166:167], s[12:13], v[132:133], v[154:155]
	v_fma_f64 v[154:155], v[132:133], s[12:13], -v[154:155]
	v_add_f64 v[152:153], v[152:153], v[172:173]
	v_mul_f64 v[172:173], v[134:135], s[12:13]
	v_add_f64 v[154:155], v[154:155], v[174:175]
	v_mul_f64 v[174:175], v[114:115], s[42:43]
	v_add_f64 v[164:165], v[164:165], v[184:185]
	v_add_f64 v[166:167], v[166:167], v[186:187]
	v_fma_f64 v[184:185], s[40:41], v[112:113], v[172:173]
	v_fmac_f64_e32 v[172:173], s[18:19], v[112:113]
	v_fma_f64 v[186:187], s[36:37], v[132:133], v[174:175]
	v_fma_f64 v[174:175], v[132:133], s[36:37], -v[174:175]
	v_add_f64 v[172:173], v[172:173], v[188:189]
	;; [unrolled: 10-line block ×3, first 2 shown]
	v_mul_f64 v[204:205], v[134:135], s[16:17]
	v_add_f64 v[200:201], v[200:201], v[208:209]
	v_mul_f64 v[208:209], v[114:115], s[6:7]
	v_add_f64 v[190:191], v[190:191], v[206:207]
	v_add_f64 v[202:203], v[202:203], v[210:211]
	v_fma_f64 v[206:207], s[22:23], v[112:113], v[204:205]
	v_fmac_f64_e32 v[204:205], s[54:55], v[112:113]
	v_fma_f64 v[210:211], s[0:1], v[132:133], v[208:209]
	v_fma_f64 v[208:209], v[132:133], s[0:1], -v[208:209]
	v_mul_f64 v[114:115], v[114:115], s[34:35]
	v_add_f64 v[204:205], v[204:205], v[212:213]
	v_mul_f64 v[212:213], v[134:135], s[0:1]
	v_add_f64 v[208:209], v[208:209], v[216:217]
	v_fma_f64 v[216:217], s[24:25], v[132:133], v[114:115]
	v_mul_f64 v[134:135], v[134:135], s[24:25]
	v_fma_f64 v[114:115], v[132:133], s[24:25], -v[114:115]
	v_add_f64 v[210:211], v[210:211], v[218:219]
	v_fma_f64 v[218:219], s[52:53], v[112:113], v[134:135]
	v_add_f64 v[114:115], v[114:115], v[126:127]
	v_fmac_f64_e32 v[134:135], s[34:35], v[112:113]
	v_add_f64 v[126:127], v[106:107], v[110:111]
	v_add_f64 v[106:107], v[106:107], -v[110:111]
	v_add_f64 v[206:207], v[206:207], v[214:215]
	v_fma_f64 v[214:215], s[30:31], v[112:113], v[212:213]
	v_fmac_f64_e32 v[212:213], s[6:7], v[112:113]
	v_add_f64 v[112:113], v[134:135], v[124:125]
	v_add_f64 v[124:125], v[104:105], v[108:109]
	v_add_f64 v[104:105], v[104:105], -v[108:109]
	v_mul_f64 v[108:109], v[106:107], s[34:35]
	v_fma_f64 v[110:111], s[24:25], v[124:125], v[108:109]
	v_add_f64 v[110:111], v[110:111], v[118:119]
	v_mul_f64 v[118:119], v[126:127], s[24:25]
	v_fma_f64 v[132:133], s[52:53], v[104:105], v[118:119]
	v_fma_f64 v[108:109], v[124:125], s[24:25], -v[108:109]
	v_fmac_f64_e32 v[118:119], s[34:35], v[104:105]
	v_add_f64 v[108:109], v[108:109], v[116:117]
	v_add_f64 v[116:117], v[118:119], v[128:129]
	v_mul_f64 v[118:119], v[106:107], s[44:45]
	v_fma_f64 v[128:129], s[20:21], v[124:125], v[118:119]
	v_mul_f64 v[134:135], v[126:127], s[20:21]
	v_add_f64 v[128:129], v[128:129], v[136:137]
	v_fma_f64 v[136:137], s[26:27], v[104:105], v[134:135]
	v_fma_f64 v[118:119], v[124:125], s[20:21], -v[118:119]
	v_fmac_f64_e32 v[134:135], s[44:45], v[104:105]
	v_add_f64 v[118:119], v[118:119], v[130:131]
	v_add_f64 v[130:131], v[134:135], v[138:139]
	v_mul_f64 v[134:135], v[106:107], s[6:7]
	v_fma_f64 v[138:139], s[0:1], v[124:125], v[134:135]
	v_fma_f64 v[134:135], v[124:125], s[0:1], -v[134:135]
	v_add_f64 v[132:133], v[132:133], v[140:141]
	v_mul_f64 v[140:141], v[126:127], s[0:1]
	v_add_f64 v[134:135], v[134:135], v[142:143]
	v_mul_f64 v[142:143], v[106:107], s[38:39]
	v_add_f64 v[136:137], v[136:137], v[144:145]
	v_add_f64 v[138:139], v[138:139], v[146:147]
	v_fma_f64 v[144:145], s[30:31], v[104:105], v[140:141]
	v_fmac_f64_e32 v[140:141], s[6:7], v[104:105]
	v_fma_f64 v[146:147], s[28:29], v[124:125], v[142:143]
	v_fma_f64 v[142:143], v[124:125], s[28:29], -v[142:143]
	v_add_f64 v[140:141], v[140:141], v[152:153]
	v_mul_f64 v[152:153], v[126:127], s[28:29]
	v_add_f64 v[142:143], v[142:143], v[154:155]
	v_mul_f64 v[154:155], v[106:107], s[54:55]
	v_add_f64 v[144:145], v[144:145], v[164:165]
	v_add_f64 v[146:147], v[146:147], v[166:167]
	v_fma_f64 v[164:165], s[48:49], v[104:105], v[152:153]
	v_fmac_f64_e32 v[152:153], s[38:39], v[104:105]
	;; [unrolled: 10-line block ×4, first 2 shown]
	v_fma_f64 v[202:203], s[36:37], v[124:125], v[200:201]
	v_fma_f64 v[200:201], v[124:125], s[36:37], -v[200:201]
	v_mul_f64 v[106:107], v[106:107], s[40:41]
	v_add_f64 v[188:189], v[188:189], v[204:205]
	v_mul_f64 v[204:205], v[126:127], s[36:37]
	v_add_f64 v[200:201], v[200:201], v[208:209]
	v_fma_f64 v[208:209], s[12:13], v[124:125], v[106:107]
	v_mul_f64 v[126:127], v[126:127], s[12:13]
	v_fma_f64 v[106:107], v[124:125], s[12:13], -v[106:107]
	v_add_f64 v[202:203], v[202:203], v[210:211]
	v_fma_f64 v[210:211], s[18:19], v[104:105], v[126:127]
	v_add_f64 v[106:107], v[106:107], v[114:115]
	v_fmac_f64_e32 v[126:127], s[40:41], v[104:105]
	v_add_f64 v[114:115], v[98:99], v[102:103]
	v_add_f64 v[98:99], v[98:99], -v[102:103]
	v_add_f64 v[190:191], v[190:191], v[206:207]
	v_fma_f64 v[206:207], s[50:51], v[104:105], v[204:205]
	v_fmac_f64_e32 v[204:205], s[42:43], v[104:105]
	v_add_f64 v[104:105], v[126:127], v[112:113]
	v_add_f64 v[112:113], v[96:97], v[100:101]
	v_add_f64 v[96:97], v[96:97], -v[100:101]
	v_mul_f64 v[100:101], v[98:99], s[38:39]
	v_fma_f64 v[102:103], s[28:29], v[112:113], v[100:101]
	v_add_f64 v[102:103], v[102:103], v[110:111]
	v_mul_f64 v[110:111], v[114:115], s[28:29]
	v_fma_f64 v[124:125], s[48:49], v[96:97], v[110:111]
	v_fma_f64 v[100:101], v[112:113], s[28:29], -v[100:101]
	v_fmac_f64_e32 v[110:111], s[38:39], v[96:97]
	v_add_f64 v[100:101], v[100:101], v[108:109]
	v_add_f64 v[108:109], v[110:111], v[116:117]
	v_mul_f64 v[110:111], v[98:99], s[40:41]
	v_fma_f64 v[116:117], s[12:13], v[112:113], v[110:111]
	v_mul_f64 v[126:127], v[114:115], s[12:13]
	v_add_f64 v[116:117], v[116:117], v[128:129]
	v_fma_f64 v[128:129], s[18:19], v[96:97], v[126:127]
	v_fma_f64 v[110:111], v[112:113], s[12:13], -v[110:111]
	v_fmac_f64_e32 v[126:127], s[40:41], v[96:97]
	v_add_f64 v[110:111], v[110:111], v[118:119]
	v_add_f64 v[118:119], v[126:127], v[130:131]
	v_mul_f64 v[126:127], v[98:99], s[22:23]
	v_fma_f64 v[130:131], s[16:17], v[112:113], v[126:127]
	v_fma_f64 v[126:127], v[112:113], s[16:17], -v[126:127]
	v_add_f64 v[124:125], v[124:125], v[132:133]
	v_mul_f64 v[132:133], v[114:115], s[16:17]
	v_add_f64 v[126:127], v[126:127], v[134:135]
	v_mul_f64 v[134:135], v[98:99], s[52:53]
	v_add_f64 v[128:129], v[128:129], v[136:137]
	v_add_f64 v[130:131], v[130:131], v[138:139]
	v_fma_f64 v[136:137], s[54:55], v[96:97], v[132:133]
	v_fmac_f64_e32 v[132:133], s[22:23], v[96:97]
	v_fma_f64 v[138:139], s[24:25], v[112:113], v[134:135]
	v_fma_f64 v[134:135], v[112:113], s[24:25], -v[134:135]
	v_add_f64 v[132:133], v[132:133], v[140:141]
	v_mul_f64 v[140:141], v[114:115], s[24:25]
	v_add_f64 v[134:135], v[134:135], v[142:143]
	v_mul_f64 v[142:143], v[98:99], s[6:7]
	v_add_f64 v[136:137], v[136:137], v[144:145]
	v_add_f64 v[138:139], v[138:139], v[146:147]
	v_fma_f64 v[144:145], s[34:35], v[96:97], v[140:141]
	v_fmac_f64_e32 v[140:141], s[52:53], v[96:97]
	v_fma_f64 v[146:147], s[0:1], v[112:113], v[142:143]
	v_fma_f64 v[142:143], v[112:113], s[0:1], -v[142:143]
	v_add_f64 v[242:243], v[242:243], v[250:251]
	v_add_f64 v[244:245], v[244:245], v[252:253]
	;; [unrolled: 1-line block ×3, first 2 shown]
	v_mul_f64 v[152:153], v[114:115], s[0:1]
	v_add_f64 v[142:143], v[142:143], v[154:155]
	v_mul_f64 v[154:155], v[98:99], s[42:43]
	v_add_f64 v[240:241], v[240:241], v[248:249]
	v_add_f64 v[246:247], v[246:247], v[254:255]
	;; [unrolled: 1-line block ×6, first 2 shown]
	v_fma_f64 v[164:165], s[30:31], v[96:97], v[152:153]
	v_fmac_f64_e32 v[152:153], s[6:7], v[96:97]
	v_fma_f64 v[166:167], s[36:37], v[112:113], v[154:155]
	v_fma_f64 v[154:155], v[112:113], s[36:37], -v[154:155]
	v_add_f64 v[228:229], v[228:229], v[240:241]
	v_add_f64 v[234:235], v[234:235], v[246:247]
	;; [unrolled: 1-line block ×5, first 2 shown]
	v_mul_f64 v[172:173], v[114:115], s[36:37]
	v_add_f64 v[154:155], v[154:155], v[174:175]
	v_mul_f64 v[174:175], v[98:99], s[46:47]
	v_add_f64 v[220:221], v[220:221], v[228:229]
	v_add_f64 v[226:227], v[226:227], v[234:235]
	;; [unrolled: 1-line block ×6, first 2 shown]
	v_fma_f64 v[184:185], s[50:51], v[96:97], v[172:173]
	v_fmac_f64_e32 v[172:173], s[42:43], v[96:97]
	v_fma_f64 v[186:187], s[4:5], v[112:113], v[174:175]
	v_fma_f64 v[174:175], v[112:113], s[4:5], -v[174:175]
	v_mul_f64 v[98:99], v[98:99], s[26:27]
	v_add_f64 v[212:213], v[212:213], v[220:221]
	v_add_f64 v[218:219], v[218:219], v[226:227]
	;; [unrolled: 1-line block ×5, first 2 shown]
	v_mul_f64 v[188:189], v[114:115], s[4:5]
	v_add_f64 v[174:175], v[174:175], v[200:201]
	v_fma_f64 v[200:201], s[20:21], v[112:113], v[98:99]
	v_mul_f64 v[114:115], v[114:115], s[20:21]
	v_add_f64 v[214:215], v[90:91], -v[94:95]
	v_add_f64 v[204:205], v[204:205], v[212:213]
	v_add_f64 v[210:211], v[210:211], v[218:219]
	;; [unrolled: 1-line block ×4, first 2 shown]
	v_fma_f64 v[202:203], s[44:45], v[96:97], v[114:115]
	v_add_f64 v[208:209], v[88:89], v[92:93]
	v_add_f64 v[212:213], v[88:89], -v[92:93]
	v_mul_f64 v[92:93], v[214:215], s[42:43]
	v_add_f64 v[202:203], v[202:203], v[210:211]
	v_add_f64 v[210:211], v[90:91], v[94:95]
	v_fma_f64 v[88:89], s[36:37], v[208:209], v[92:93]
	v_fma_f64 v[92:93], v[208:209], s[36:37], -v[92:93]
	v_mul_f64 v[94:95], v[210:211], s[36:37]
	v_add_f64 v[92:93], v[92:93], v[100:101]
	v_mul_f64 v[100:101], v[214:215], s[30:31]
	v_add_f64 v[184:185], v[184:185], v[190:191]
	v_fma_f64 v[190:191], s[14:15], v[96:97], v[188:189]
	v_fmac_f64_e32 v[188:189], s[46:47], v[96:97]
	v_fmac_f64_e32 v[114:115], s[26:27], v[96:97]
	v_fma_f64 v[90:91], s[50:51], v[212:213], v[94:95]
	v_fmac_f64_e32 v[94:95], s[42:43], v[212:213]
	v_fma_f64 v[96:97], s[0:1], v[208:209], v[100:101]
	v_fma_f64 v[100:101], v[208:209], s[0:1], -v[100:101]
	v_fma_f64 v[98:99], v[112:113], s[20:21], -v[98:99]
	v_add_f64 v[88:89], v[88:89], v[102:103]
	v_add_f64 v[94:95], v[94:95], v[108:109]
	v_mul_f64 v[102:103], v[210:211], s[0:1]
	v_add_f64 v[100:101], v[100:101], v[110:111]
	v_mul_f64 v[108:109], v[214:215], s[38:39]
	v_mul_f64 v[110:111], v[210:211], s[28:29]
	v_add_f64 v[190:191], v[190:191], v[206:207]
	v_add_f64 v[188:189], v[188:189], v[204:205]
	;; [unrolled: 1-line block ×4, first 2 shown]
	v_fma_f64 v[98:99], s[6:7], v[212:213], v[102:103]
	v_fmac_f64_e32 v[102:103], s[30:31], v[212:213]
	v_fma_f64 v[104:105], s[28:29], v[208:209], v[108:109]
	v_fma_f64 v[106:107], s[48:49], v[212:213], v[110:111]
	v_add_f64 v[96:97], v[96:97], v[116:117]
	v_add_f64 v[98:99], v[98:99], v[128:129]
	;; [unrolled: 1-line block ×5, first 2 shown]
	v_fma_f64 v[108:109], v[208:209], s[28:29], -v[108:109]
	v_fmac_f64_e32 v[110:111], s[38:39], v[212:213]
	v_mul_f64 v[116:117], v[214:215], s[46:47]
	v_mul_f64 v[118:119], v[210:211], s[4:5]
	;; [unrolled: 1-line block ×5, first 2 shown]
	v_add_f64 v[90:91], v[90:91], v[124:125]
	v_add_f64 v[108:109], v[108:109], v[126:127]
	;; [unrolled: 1-line block ×3, first 2 shown]
	v_fma_f64 v[112:113], s[4:5], v[208:209], v[116:117]
	v_fma_f64 v[114:115], s[14:15], v[212:213], v[118:119]
	;; [unrolled: 1-line block ×5, first 2 shown]
	v_add_f64 v[112:113], v[112:113], v[138:139]
	v_add_f64 v[114:115], v[114:115], v[144:145]
	v_fma_f64 v[116:117], v[208:209], s[4:5], -v[116:117]
	v_fmac_f64_e32 v[118:119], s[46:47], v[212:213]
	v_add_f64 v[124:125], v[124:125], v[146:147]
	v_add_f64 v[126:127], v[126:127], v[164:165]
	v_fma_f64 v[128:129], v[208:209], s[24:25], -v[128:129]
	v_fmac_f64_e32 v[130:131], s[34:35], v[212:213]
	v_add_f64 v[132:133], v[132:133], v[166:167]
	v_mul_f64 v[138:139], v[210:211], s[12:13]
	v_fma_f64 v[136:137], v[208:209], s[12:13], -v[136:137]
	v_mul_f64 v[144:145], v[214:215], s[26:27]
	v_mul_f64 v[146:147], v[210:211], s[20:21]
	;; [unrolled: 1-line block ×4, first 2 shown]
	v_add_f64 v[116:117], v[116:117], v[134:135]
	v_add_f64 v[118:119], v[118:119], v[140:141]
	;; [unrolled: 1-line block ×4, first 2 shown]
	v_fma_f64 v[134:135], s[18:19], v[212:213], v[138:139]
	v_add_f64 v[136:137], v[136:137], v[154:155]
	v_fmac_f64_e32 v[138:139], s[40:41], v[212:213]
	v_fma_f64 v[140:141], s[20:21], v[208:209], v[144:145]
	v_fma_f64 v[142:143], s[44:45], v[212:213], v[146:147]
	v_fma_f64 v[144:145], v[208:209], s[20:21], -v[144:145]
	v_fmac_f64_e32 v[146:147], s[26:27], v[212:213]
	v_fma_f64 v[152:153], s[16:17], v[208:209], v[164:165]
	v_fma_f64 v[154:155], s[22:23], v[212:213], v[166:167]
	v_fma_f64 v[164:165], v[208:209], s[16:17], -v[164:165]
	v_fmac_f64_e32 v[166:167], s[54:55], v[212:213]
	v_add_f64 v[134:135], v[134:135], v[184:185]
	v_add_f64 v[138:139], v[138:139], v[172:173]
	;; [unrolled: 1-line block ×10, first 2 shown]
	s_waitcnt lgkmcnt(0)
	; wave barrier
	ds_write_b128 v237, v[120:123]
	ds_write_b128 v237, v[88:91] offset:16
	ds_write_b128 v237, v[96:99] offset:32
	;; [unrolled: 1-line block ×16, first 2 shown]
	s_and_saveexec_b64 s[56:57], vcc
	s_cbranch_execz .LBB0_13
; %bb.12:
	v_accvgpr_read_b32 v64, a90
	v_accvgpr_read_b32 v65, a91
	v_accvgpr_read_b32 v66, a92
	v_accvgpr_read_b32 v67, a93
	v_accvgpr_write_b32 a93, v47
	v_accvgpr_write_b32 a92, v46
	v_accvgpr_write_b32 a91, v45
	v_accvgpr_write_b32 a90, v44
	v_accvgpr_read_b32 v44, a86
	v_accvgpr_read_b32 v45, a87
	v_accvgpr_read_b32 v46, a88
	v_accvgpr_read_b32 v47, a89
	v_accvgpr_write_b32 a89, v43
	v_accvgpr_write_b32 a88, v42
	v_accvgpr_write_b32 a87, v41
	v_accvgpr_write_b32 a86, v40
	;; [unrolled: 8-line block ×4, first 2 shown]
	v_accvgpr_read_b32 v32, a74
	v_accvgpr_read_b32 v33, a75
	;; [unrolled: 1-line block ×4, first 2 shown]
	v_add_f64 v[218:219], v[0:1], -v[32:33]
	v_add_f64 v[216:217], v[4:5], -v[36:37]
	v_mul_f64 v[116:117], v[218:219], s[42:43]
	v_add_f64 v[166:167], v[2:3], v[34:35]
	v_add_f64 v[234:235], v[2:3], -v[34:35]
	v_add_f64 v[214:215], v[52:53], -v[40:41]
	v_mul_f64 v[112:113], v[216:217], s[30:31]
	v_add_f64 v[164:165], v[6:7], v[38:39]
	v_fma_f64 v[118:119], s[36:37], v[166:167], v[116:117]
	v_add_f64 v[232:233], v[6:7], -v[38:39]
	v_add_f64 v[202:203], v[0:1], v[32:33]
	v_mul_f64 v[134:135], v[234:235], s[42:43]
	v_accvgpr_read_b32 v68, a94
	v_add_f64 v[212:213], v[8:9], -v[44:45]
	v_mul_f64 v[108:109], v[214:215], s[38:39]
	v_add_f64 v[154:155], v[54:55], v[42:43]
	v_fma_f64 v[114:115], s[0:1], v[164:165], v[112:113]
	v_add_f64 v[118:119], v[50:51], v[118:119]
	v_add_f64 v[230:231], v[54:55], -v[42:43]
	v_add_f64 v[184:185], v[4:5], v[36:37]
	v_mul_f64 v[130:131], v[232:233], s[30:31]
	v_fma_f64 v[136:137], v[202:203], s[36:37], -v[134:135]
	v_accvgpr_read_b32 v72, a98
	v_accvgpr_read_b32 v69, a95
	v_add_f64 v[210:211], v[12:13], -v[64:65]
	v_mul_f64 v[104:105], v[212:213], s[46:47]
	v_add_f64 v[152:153], v[10:11], v[46:47]
	v_fma_f64 v[110:111], s[28:29], v[154:155], v[108:109]
	v_add_f64 v[114:115], v[114:115], v[118:119]
	v_add_f64 v[228:229], v[10:11], -v[46:47]
	v_add_f64 v[200:201], v[52:53], v[40:41]
	v_mul_f64 v[126:127], v[230:231], s[38:39]
	v_fma_f64 v[132:133], v[184:185], s[0:1], -v[130:131]
	v_add_f64 v[136:137], v[48:49], v[136:137]
	v_accvgpr_read_b32 v73, a99
	v_accvgpr_read_b32 v70, a96
	;; [unrolled: 1-line block ×3, first 2 shown]
	v_add_f64 v[208:209], v[56:57], -v[68:69]
	v_mul_f64 v[100:101], v[210:211], s[34:35]
	v_add_f64 v[146:147], v[14:15], v[66:67]
	v_fma_f64 v[106:107], s[4:5], v[152:153], v[104:105]
	v_add_f64 v[110:111], v[110:111], v[114:115]
	v_add_f64 v[226:227], v[14:15], -v[66:67]
	v_add_f64 v[190:191], v[8:9], v[44:45]
	v_mul_f64 v[122:123], v[228:229], s[46:47]
	v_fma_f64 v[128:129], v[200:201], s[28:29], -v[126:127]
	v_add_f64 v[132:133], v[132:133], v[136:137]
	v_accvgpr_read_b32 v74, a100
	v_accvgpr_read_b32 v75, a101
	v_add_f64 v[206:207], v[16:17], -v[72:73]
	v_mul_f64 v[96:97], v[208:209], s[40:41]
	v_add_f64 v[144:145], v[58:59], v[70:71]
	v_fma_f64 v[102:103], s[24:25], v[146:147], v[100:101]
	v_add_f64 v[106:107], v[106:107], v[110:111]
	v_add_f64 v[224:225], v[58:59], -v[70:71]
	v_add_f64 v[188:189], v[12:13], v[64:65]
	v_mul_f64 v[118:119], v[226:227], s[34:35]
	v_fma_f64 v[124:125], v[190:191], s[4:5], -v[122:123]
	v_add_f64 v[128:129], v[128:129], v[132:133]
	v_add_f64 v[204:205], v[20:21], -v[60:61]
	v_mul_f64 v[94:95], v[206:207], s[26:27]
	v_add_f64 v[142:143], v[18:19], v[74:75]
	v_fma_f64 v[98:99], s[12:13], v[144:145], v[96:97]
	v_add_f64 v[102:103], v[102:103], v[106:107]
	v_add_f64 v[222:223], v[18:19], -v[74:75]
	v_add_f64 v[186:187], v[56:57], v[68:69]
	v_mul_f64 v[110:111], v[224:225], s[40:41]
	v_fma_f64 v[120:121], v[188:189], s[24:25], -v[118:119]
	v_add_f64 v[124:125], v[124:125], v[128:129]
	v_mul_f64 v[92:93], v[204:205], s[54:55]
	v_add_f64 v[140:141], v[22:23], v[62:63]
	v_fma_f64 v[90:91], s[20:21], v[142:143], v[94:95]
	v_add_f64 v[98:99], v[98:99], v[102:103]
	v_add_f64 v[220:221], v[22:23], -v[62:63]
	v_add_f64 v[174:175], v[16:17], v[72:73]
	v_mul_f64 v[102:103], v[222:223], s[26:27]
	v_fma_f64 v[114:115], v[186:187], s[12:13], -v[110:111]
	v_add_f64 v[120:121], v[120:121], v[124:125]
	v_fma_f64 v[88:89], s[16:17], v[140:141], v[92:93]
	v_add_f64 v[90:91], v[90:91], v[98:99]
	v_add_f64 v[172:173], v[20:21], v[60:61]
	v_mul_f64 v[98:99], v[220:221], s[54:55]
	v_fma_f64 v[106:107], v[174:175], s[20:21], -v[102:103]
	v_add_f64 v[114:115], v[114:115], v[120:121]
	v_add_f64 v[90:91], v[88:89], v[90:91]
	v_fma_f64 v[88:89], v[172:173], s[16:17], -v[98:99]
	v_add_f64 v[106:107], v[106:107], v[114:115]
	v_add_f64 v[88:89], v[88:89], v[106:107]
	v_fma_f64 v[106:107], v[154:155], s[28:29], -v[108:109]
	v_fma_f64 v[108:109], v[164:165], s[0:1], -v[112:113]
	;; [unrolled: 1-line block ×3, first 2 shown]
	v_add_f64 v[112:113], v[50:51], v[112:113]
	v_add_f64 v[108:109], v[108:109], v[112:113]
	v_fma_f64 v[104:105], v[152:153], s[4:5], -v[104:105]
	v_add_f64 v[106:107], v[106:107], v[108:109]
	v_fma_f64 v[100:101], v[146:147], s[24:25], -v[100:101]
	v_add_f64 v[104:105], v[104:105], v[106:107]
	v_fma_f64 v[96:97], v[144:145], s[12:13], -v[96:97]
	v_add_f64 v[100:101], v[100:101], v[104:105]
	v_fma_f64 v[94:95], v[142:143], s[20:21], -v[94:95]
	v_add_f64 v[96:97], v[96:97], v[100:101]
	v_fma_f64 v[92:93], v[140:141], s[16:17], -v[92:93]
	v_add_f64 v[94:95], v[94:95], v[96:97]
	v_fmac_f64_e32 v[134:135], s[36:37], v[202:203]
	v_add_f64 v[94:95], v[92:93], v[94:95]
	v_fmac_f64_e32 v[130:131], s[0:1], v[184:185]
	;; [unrolled: 2-line block ×3, first 2 shown]
	v_add_f64 v[92:93], v[130:131], v[92:93]
	v_mul_f64 v[124:125], v[218:219], s[38:39]
	v_fmac_f64_e32 v[122:123], s[4:5], v[190:191]
	v_add_f64 v[92:93], v[126:127], v[92:93]
	v_mul_f64 v[120:121], v[216:217], s[40:41]
	v_fma_f64 v[126:127], s[28:29], v[166:167], v[124:125]
	v_mul_f64 v[242:243], v[234:235], s[38:39]
	v_fmac_f64_e32 v[118:119], s[24:25], v[188:189]
	v_add_f64 v[92:93], v[122:123], v[92:93]
	v_mul_f64 v[116:117], v[214:215], s[22:23]
	v_fma_f64 v[122:123], s[12:13], v[164:165], v[120:121]
	v_add_f64 v[126:127], v[50:51], v[126:127]
	v_mul_f64 v[138:139], v[232:233], s[40:41]
	v_fma_f64 v[244:245], v[202:203], s[28:29], -v[242:243]
	v_add_f64 v[92:93], v[118:119], v[92:93]
	v_mul_f64 v[112:113], v[212:213], s[52:53]
	v_fma_f64 v[118:119], s[16:17], v[154:155], v[116:117]
	v_add_f64 v[122:123], v[122:123], v[126:127]
	v_mul_f64 v[134:135], v[230:231], s[22:23]
	v_fma_f64 v[240:241], v[184:185], s[12:13], -v[138:139]
	v_add_f64 v[244:245], v[48:49], v[244:245]
	v_fmac_f64_e32 v[110:111], s[12:13], v[186:187]
	v_mul_f64 v[108:109], v[210:211], s[6:7]
	v_fma_f64 v[114:115], s[24:25], v[152:153], v[112:113]
	v_add_f64 v[118:119], v[118:119], v[122:123]
	v_mul_f64 v[130:131], v[228:229], s[52:53]
	v_fma_f64 v[136:137], v[200:201], s[16:17], -v[134:135]
	v_add_f64 v[240:241], v[240:241], v[244:245]
	v_fmac_f64_e32 v[102:103], s[20:21], v[174:175]
	v_add_f64 v[92:93], v[110:111], v[92:93]
	v_mul_f64 v[104:105], v[208:209], s[42:43]
	v_fma_f64 v[110:111], s[0:1], v[146:147], v[108:109]
	v_add_f64 v[114:115], v[114:115], v[118:119]
	v_mul_f64 v[126:127], v[226:227], s[6:7]
	v_fma_f64 v[132:133], v[190:191], s[24:25], -v[130:131]
	v_add_f64 v[136:137], v[136:137], v[240:241]
	v_fmac_f64_e32 v[98:99], s[16:17], v[172:173]
	v_add_f64 v[92:93], v[102:103], v[92:93]
	v_mul_f64 v[102:103], v[206:207], s[46:47]
	v_fma_f64 v[106:107], s[36:37], v[144:145], v[104:105]
	v_add_f64 v[110:111], v[110:111], v[114:115]
	v_mul_f64 v[118:119], v[224:225], s[42:43]
	v_fma_f64 v[128:129], v[188:189], s[0:1], -v[126:127]
	v_add_f64 v[132:133], v[132:133], v[136:137]
	v_add_f64 v[92:93], v[98:99], v[92:93]
	v_mul_f64 v[100:101], v[204:205], s[26:27]
	v_fma_f64 v[98:99], s[4:5], v[142:143], v[102:103]
	v_add_f64 v[106:107], v[106:107], v[110:111]
	v_mul_f64 v[110:111], v[222:223], s[46:47]
	v_fma_f64 v[122:123], v[186:187], s[36:37], -v[118:119]
	v_add_f64 v[128:129], v[128:129], v[132:133]
	v_fma_f64 v[96:97], s[20:21], v[140:141], v[100:101]
	v_add_f64 v[98:99], v[98:99], v[106:107]
	v_mul_f64 v[106:107], v[220:221], s[26:27]
	v_fma_f64 v[114:115], v[174:175], s[4:5], -v[110:111]
	v_add_f64 v[122:123], v[122:123], v[128:129]
	v_add_f64 v[98:99], v[96:97], v[98:99]
	v_fma_f64 v[96:97], v[172:173], s[20:21], -v[106:107]
	v_add_f64 v[114:115], v[114:115], v[122:123]
	v_add_f64 v[96:97], v[96:97], v[114:115]
	v_fma_f64 v[114:115], v[154:155], s[16:17], -v[116:117]
	v_fma_f64 v[116:117], v[164:165], s[12:13], -v[120:121]
	;; [unrolled: 1-line block ×3, first 2 shown]
	v_add_f64 v[120:121], v[50:51], v[120:121]
	v_add_f64 v[116:117], v[116:117], v[120:121]
	v_fma_f64 v[112:113], v[152:153], s[24:25], -v[112:113]
	v_add_f64 v[114:115], v[114:115], v[116:117]
	v_fma_f64 v[108:109], v[146:147], s[0:1], -v[108:109]
	;; [unrolled: 2-line block ×5, first 2 shown]
	v_add_f64 v[102:103], v[102:103], v[104:105]
	v_fmac_f64_e32 v[242:243], s[28:29], v[202:203]
	v_add_f64 v[102:103], v[100:101], v[102:103]
	v_fmac_f64_e32 v[138:139], s[12:13], v[184:185]
	;; [unrolled: 2-line block ×3, first 2 shown]
	v_add_f64 v[100:101], v[138:139], v[100:101]
	v_mul_f64 v[132:133], v[218:219], s[34:35]
	v_fmac_f64_e32 v[130:131], s[24:25], v[190:191]
	v_add_f64 v[100:101], v[134:135], v[100:101]
	v_mul_f64 v[128:129], v[216:217], s[44:45]
	v_fma_f64 v[134:135], s[24:25], v[166:167], v[132:133]
	v_mul_f64 v[250:251], v[234:235], s[34:35]
	v_fmac_f64_e32 v[126:127], s[0:1], v[188:189]
	v_add_f64 v[100:101], v[130:131], v[100:101]
	v_mul_f64 v[124:125], v[214:215], s[6:7]
	v_fma_f64 v[130:131], s[20:21], v[164:165], v[128:129]
	v_add_f64 v[134:135], v[50:51], v[134:135]
	v_mul_f64 v[246:247], v[232:233], s[44:45]
	v_fma_f64 v[252:253], v[202:203], s[24:25], -v[250:251]
	v_add_f64 v[100:101], v[126:127], v[100:101]
	v_mul_f64 v[120:121], v[212:213], s[38:39]
	v_fma_f64 v[126:127], s[0:1], v[154:155], v[124:125]
	v_add_f64 v[130:131], v[130:131], v[134:135]
	v_mul_f64 v[242:243], v[230:231], s[6:7]
	v_fma_f64 v[248:249], v[184:185], s[20:21], -v[246:247]
	v_add_f64 v[252:253], v[48:49], v[252:253]
	v_fmac_f64_e32 v[118:119], s[36:37], v[186:187]
	v_mul_f64 v[116:117], v[210:211], s[54:55]
	v_fma_f64 v[122:123], s[28:29], v[152:153], v[120:121]
	v_add_f64 v[126:127], v[126:127], v[130:131]
	v_mul_f64 v[138:139], v[228:229], s[38:39]
	v_fma_f64 v[244:245], v[200:201], s[0:1], -v[242:243]
	v_add_f64 v[248:249], v[248:249], v[252:253]
	v_fmac_f64_e32 v[110:111], s[4:5], v[174:175]
	v_add_f64 v[100:101], v[118:119], v[100:101]
	v_mul_f64 v[112:113], v[208:209], s[14:15]
	v_fma_f64 v[118:119], s[16:17], v[146:147], v[116:117]
	v_add_f64 v[122:123], v[122:123], v[126:127]
	v_mul_f64 v[134:135], v[226:227], s[54:55]
	v_fma_f64 v[240:241], v[190:191], s[28:29], -v[138:139]
	v_add_f64 v[244:245], v[244:245], v[248:249]
	v_fmac_f64_e32 v[106:107], s[20:21], v[172:173]
	v_add_f64 v[100:101], v[110:111], v[100:101]
	v_mul_f64 v[110:111], v[206:207], s[42:43]
	v_fma_f64 v[114:115], s[4:5], v[144:145], v[112:113]
	v_add_f64 v[118:119], v[118:119], v[122:123]
	v_mul_f64 v[126:127], v[224:225], s[14:15]
	v_fma_f64 v[136:137], v[188:189], s[16:17], -v[134:135]
	v_add_f64 v[240:241], v[240:241], v[244:245]
	v_add_f64 v[100:101], v[106:107], v[100:101]
	v_mul_f64 v[108:109], v[204:205], s[40:41]
	v_fma_f64 v[106:107], s[36:37], v[142:143], v[110:111]
	v_add_f64 v[114:115], v[114:115], v[118:119]
	v_mul_f64 v[118:119], v[222:223], s[42:43]
	v_fma_f64 v[130:131], v[186:187], s[4:5], -v[126:127]
	v_add_f64 v[136:137], v[136:137], v[240:241]
	v_fma_f64 v[104:105], s[12:13], v[140:141], v[108:109]
	v_add_f64 v[106:107], v[106:107], v[114:115]
	v_mul_f64 v[114:115], v[220:221], s[40:41]
	v_fma_f64 v[122:123], v[174:175], s[36:37], -v[118:119]
	v_add_f64 v[130:131], v[130:131], v[136:137]
	v_add_f64 v[106:107], v[104:105], v[106:107]
	v_fma_f64 v[104:105], v[172:173], s[12:13], -v[114:115]
	v_add_f64 v[122:123], v[122:123], v[130:131]
	v_add_f64 v[104:105], v[104:105], v[122:123]
	v_fma_f64 v[122:123], v[154:155], s[0:1], -v[124:125]
	v_fma_f64 v[124:125], v[164:165], s[20:21], -v[128:129]
	;; [unrolled: 1-line block ×3, first 2 shown]
	v_add_f64 v[128:129], v[50:51], v[128:129]
	v_add_f64 v[124:125], v[124:125], v[128:129]
	v_fma_f64 v[120:121], v[152:153], s[28:29], -v[120:121]
	v_add_f64 v[122:123], v[122:123], v[124:125]
	v_fma_f64 v[116:117], v[146:147], s[16:17], -v[116:117]
	v_add_f64 v[120:121], v[120:121], v[122:123]
	v_fma_f64 v[112:113], v[144:145], s[4:5], -v[112:113]
	v_add_f64 v[116:117], v[116:117], v[120:121]
	v_fma_f64 v[110:111], v[142:143], s[36:37], -v[110:111]
	v_add_f64 v[112:113], v[112:113], v[116:117]
	v_fma_f64 v[108:109], v[140:141], s[12:13], -v[108:109]
	v_add_f64 v[110:111], v[110:111], v[112:113]
	v_fmac_f64_e32 v[250:251], s[24:25], v[202:203]
	v_add_f64 v[110:111], v[108:109], v[110:111]
	v_fmac_f64_e32 v[246:247], s[20:21], v[184:185]
	;; [unrolled: 2-line block ×3, first 2 shown]
	v_add_f64 v[108:109], v[246:247], v[108:109]
	v_mul_f64 v[240:241], v[218:219], s[26:27]
	v_pk_mov_b32 v[78:79], v[2:3], v[2:3] op_sel:[0,1]
	v_fmac_f64_e32 v[138:139], s[28:29], v[190:191]
	v_add_f64 v[108:109], v[242:243], v[108:109]
	v_mul_f64 v[136:137], v[216:217], s[48:49]
	v_fma_f64 v[242:243], s[20:21], v[166:167], v[240:241]
	v_pk_mov_b32 v[76:77], v[0:1], v[0:1] op_sel:[0,1]
	v_mul_f64 v[2:3], v[234:235], s[26:27]
	v_pk_mov_b32 v[82:83], v[6:7], v[6:7] op_sel:[0,1]
	v_fmac_f64_e32 v[134:135], s[16:17], v[188:189]
	v_add_f64 v[108:109], v[138:139], v[108:109]
	v_mul_f64 v[132:133], v[214:215], s[46:47]
	v_fma_f64 v[138:139], s[28:29], v[164:165], v[136:137]
	v_add_f64 v[242:243], v[50:51], v[242:243]
	v_mul_f64 v[254:255], v[232:233], s[48:49]
	v_pk_mov_b32 v[80:81], v[4:5], v[4:5] op_sel:[0,1]
	v_fma_f64 v[4:5], v[202:203], s[20:21], -v[2:3]
	v_add_f64 v[108:109], v[134:135], v[108:109]
	v_mul_f64 v[128:129], v[212:213], s[18:19]
	v_fma_f64 v[134:135], s[4:5], v[154:155], v[132:133]
	v_add_f64 v[138:139], v[138:139], v[242:243]
	v_mul_f64 v[250:251], v[230:231], s[46:47]
	v_fma_f64 v[0:1], v[184:185], s[28:29], -v[254:255]
	v_add_f64 v[4:5], v[48:49], v[4:5]
	v_fmac_f64_e32 v[126:127], s[4:5], v[186:187]
	v_mul_f64 v[124:125], v[210:211], s[42:43]
	v_fma_f64 v[130:131], s[12:13], v[152:153], v[128:129]
	v_add_f64 v[134:135], v[134:135], v[138:139]
	v_mul_f64 v[246:247], v[228:229], s[18:19]
	v_fma_f64 v[252:253], v[200:201], s[4:5], -v[250:251]
	v_add_f64 v[0:1], v[0:1], v[4:5]
	v_fmac_f64_e32 v[118:119], s[36:37], v[174:175]
	v_add_f64 v[108:109], v[126:127], v[108:109]
	v_mul_f64 v[120:121], v[208:209], s[54:55]
	v_fma_f64 v[126:127], s[36:37], v[146:147], v[124:125]
	v_add_f64 v[130:131], v[130:131], v[134:135]
	v_mul_f64 v[242:243], v[226:227], s[42:43]
	v_fma_f64 v[248:249], v[190:191], s[12:13], -v[246:247]
	v_add_f64 v[0:1], v[252:253], v[0:1]
	v_fmac_f64_e32 v[114:115], s[12:13], v[172:173]
	v_add_f64 v[108:109], v[118:119], v[108:109]
	v_mul_f64 v[118:119], v[206:207], s[6:7]
	v_fma_f64 v[122:123], s[16:17], v[144:145], v[120:121]
	v_add_f64 v[126:127], v[126:127], v[130:131]
	v_mul_f64 v[134:135], v[224:225], s[54:55]
	v_fma_f64 v[244:245], v[188:189], s[36:37], -v[242:243]
	v_add_f64 v[0:1], v[248:249], v[0:1]
	v_add_f64 v[108:109], v[114:115], v[108:109]
	v_mul_f64 v[116:117], v[204:205], s[34:35]
	v_fma_f64 v[114:115], s[0:1], v[142:143], v[118:119]
	v_add_f64 v[122:123], v[122:123], v[126:127]
	v_mul_f64 v[126:127], v[222:223], s[6:7]
	v_fma_f64 v[138:139], v[186:187], s[16:17], -v[134:135]
	v_add_f64 v[0:1], v[244:245], v[0:1]
	v_fma_f64 v[112:113], s[24:25], v[140:141], v[116:117]
	v_add_f64 v[114:115], v[114:115], v[122:123]
	v_mul_f64 v[122:123], v[220:221], s[34:35]
	v_fma_f64 v[130:131], v[174:175], s[0:1], -v[126:127]
	v_add_f64 v[0:1], v[138:139], v[0:1]
	v_add_f64 v[114:115], v[112:113], v[114:115]
	v_fma_f64 v[112:113], v[172:173], s[24:25], -v[122:123]
	v_add_f64 v[0:1], v[130:131], v[0:1]
	v_fma_f64 v[4:5], v[142:143], s[0:1], -v[118:119]
	v_fma_f64 v[118:119], v[152:153], s[12:13], -v[128:129]
	v_fma_f64 v[128:129], v[166:167], s[20:21], -v[240:241]
	v_add_f64 v[112:113], v[112:113], v[0:1]
	v_fma_f64 v[0:1], v[140:141], s[24:25], -v[116:117]
	v_fma_f64 v[116:117], v[146:147], s[36:37], -v[124:125]
	;; [unrolled: 4-line block ×3, first 2 shown]
	v_add_f64 v[124:125], v[124:125], v[128:129]
	v_add_f64 v[120:121], v[120:121], v[124:125]
	;; [unrolled: 1-line block ×6, first 2 shown]
	v_fmac_f64_e32 v[2:3], s[20:21], v[202:203]
	v_add_f64 v[118:119], v[0:1], v[4:5]
	v_fmac_f64_e32 v[254:255], s[28:29], v[184:185]
	v_add_f64 v[0:1], v[48:49], v[2:3]
	;; [unrolled: 2-line block ×5, first 2 shown]
	v_mul_f64 v[240:241], v[218:219], s[22:23]
	v_add_f64 v[0:1], v[242:243], v[0:1]
	v_mul_f64 v[136:137], v[216:217], s[42:43]
	v_fma_f64 v[242:243], s[16:17], v[166:167], v[240:241]
	v_pk_mov_b32 v[86:87], v[10:11], v[10:11] op_sel:[0,1]
	v_accvgpr_write_b32 a74, v148
	v_fmac_f64_e32 v[134:135], s[16:17], v[186:187]
	v_mul_f64 v[132:133], v[214:215], s[44:45]
	v_fma_f64 v[138:139], s[36:37], v[164:165], v[136:137]
	v_add_f64 v[242:243], v[50:51], v[242:243]
	v_pk_mov_b32 v[84:85], v[8:9], v[8:9] op_sel:[0,1]
	v_mul_f64 v[10:11], v[234:235], s[22:23]
	v_accvgpr_write_b32 a75, v149
	v_accvgpr_write_b32 a76, v150
	;; [unrolled: 1-line block ×3, first 2 shown]
	v_pk_mov_b32 v[150:151], v[14:15], v[14:15] op_sel:[0,1]
	v_fmac_f64_e32 v[126:127], s[0:1], v[174:175]
	v_add_f64 v[0:1], v[134:135], v[0:1]
	v_mul_f64 v[128:129], v[212:213], s[30:31]
	v_fma_f64 v[134:135], s[20:21], v[154:155], v[132:133]
	v_add_f64 v[138:139], v[138:139], v[242:243]
	v_mul_f64 v[254:255], v[232:233], s[42:43]
	v_pk_mov_b32 v[148:149], v[12:13], v[12:13] op_sel:[0,1]
	v_fma_f64 v[12:13], v[202:203], s[16:17], -v[10:11]
	v_fmac_f64_e32 v[122:123], s[24:25], v[172:173]
	v_add_f64 v[0:1], v[126:127], v[0:1]
	v_mul_f64 v[126:127], v[210:211], s[18:19]
	v_fma_f64 v[130:131], s[0:1], v[152:153], v[128:129]
	v_add_f64 v[134:135], v[134:135], v[138:139]
	v_mul_f64 v[250:251], v[230:231], s[44:45]
	v_fma_f64 v[8:9], v[184:185], s[36:37], -v[254:255]
	v_add_f64 v[12:13], v[48:49], v[12:13]
	v_add_f64 v[116:117], v[122:123], v[0:1]
	v_mul_f64 v[124:125], v[208:209], s[38:39]
	v_fma_f64 v[122:123], s[12:13], v[146:147], v[126:127]
	v_add_f64 v[130:131], v[130:131], v[134:135]
	v_mul_f64 v[246:247], v[228:229], s[30:31]
	v_fma_f64 v[252:253], v[200:201], s[20:21], -v[250:251]
	v_add_f64 v[8:9], v[8:9], v[12:13]
	v_mul_f64 v[4:5], v[206:207], s[52:53]
	v_fma_f64 v[120:121], s[28:29], v[144:145], v[124:125]
	v_add_f64 v[122:123], v[122:123], v[130:131]
	v_mul_f64 v[242:243], v[226:227], s[18:19]
	v_fma_f64 v[248:249], v[190:191], s[0:1], -v[246:247]
	;; [unrolled: 6-line block ×3, first 2 shown]
	v_add_f64 v[8:9], v[248:249], v[8:9]
	v_fma_f64 v[2:3], s[4:5], v[140:141], v[0:1]
	v_add_f64 v[6:7], v[6:7], v[120:121]
	v_mul_f64 v[130:131], v[222:223], s[52:53]
	v_fma_f64 v[138:139], v[186:187], s[28:29], -v[134:135]
	v_add_f64 v[8:9], v[244:245], v[8:9]
	v_add_f64 v[122:123], v[2:3], v[6:7]
	v_mul_f64 v[2:3], v[220:221], s[46:47]
	v_fma_f64 v[120:121], v[174:175], s[24:25], -v[130:131]
	v_add_f64 v[8:9], v[138:139], v[8:9]
	v_fma_f64 v[6:7], v[172:173], s[4:5], -v[2:3]
	v_add_f64 v[8:9], v[120:121], v[8:9]
	v_add_f64 v[120:121], v[6:7], v[8:9]
	v_fma_f64 v[8:9], v[146:147], s[12:13], -v[126:127]
	v_fma_f64 v[126:127], v[166:167], s[16:17], -v[240:241]
	;; [unrolled: 1-line block ×4, first 2 shown]
	v_add_f64 v[126:127], v[50:51], v[126:127]
	v_fma_f64 v[14:15], v[154:155], s[20:21], -v[132:133]
	v_add_f64 v[124:125], v[124:125], v[126:127]
	v_fma_f64 v[12:13], v[152:153], s[0:1], -v[128:129]
	v_add_f64 v[14:15], v[14:15], v[124:125]
	v_add_f64 v[12:13], v[12:13], v[14:15]
	;; [unrolled: 1-line block ×3, first 2 shown]
	v_fma_f64 v[4:5], v[142:143], s[24:25], -v[4:5]
	v_add_f64 v[6:7], v[6:7], v[8:9]
	v_fma_f64 v[0:1], v[140:141], s[4:5], -v[0:1]
	v_add_f64 v[4:5], v[4:5], v[6:7]
	v_fmac_f64_e32 v[10:11], s[16:17], v[202:203]
	v_add_f64 v[126:127], v[0:1], v[4:5]
	v_fmac_f64_e32 v[254:255], s[36:37], v[184:185]
	;; [unrolled: 2-line block ×5, first 2 shown]
	v_add_f64 v[0:1], v[246:247], v[0:1]
	v_mul_f64 v[240:241], v[218:219], s[18:19]
	v_accvgpr_write_b32 a94, v156
	v_fmac_f64_e32 v[134:135], s[28:29], v[186:187]
	v_add_f64 v[0:1], v[242:243], v[0:1]
	v_mul_f64 v[136:137], v[216:217], s[34:35]
	v_fma_f64 v[242:243], s[12:13], v[166:167], v[240:241]
	v_accvgpr_write_b32 a95, v157
	v_accvgpr_write_b32 a96, v158
	;; [unrolled: 1-line block ×3, first 2 shown]
	v_pk_mov_b32 v[158:159], v[18:19], v[18:19] op_sel:[0,1]
	v_accvgpr_write_b32 a98, v160
	v_fmac_f64_e32 v[130:131], s[24:25], v[174:175]
	v_add_f64 v[0:1], v[134:135], v[0:1]
	v_mul_f64 v[134:135], v[214:215], s[50:51]
	v_fma_f64 v[138:139], s[24:25], v[164:165], v[136:137]
	v_add_f64 v[242:243], v[50:51], v[242:243]
	v_pk_mov_b32 v[156:157], v[16:17], v[16:17] op_sel:[0,1]
	v_mul_f64 v[18:19], v[234:235], s[18:19]
	v_accvgpr_write_b32 a99, v161
	v_accvgpr_write_b32 a100, v162
	;; [unrolled: 1-line block ×3, first 2 shown]
	v_pk_mov_b32 v[162:163], v[22:23], v[22:23] op_sel:[0,1]
	v_add_f64 v[0:1], v[130:131], v[0:1]
	v_mul_f64 v[132:133], v[212:213], s[44:45]
	v_fma_f64 v[130:131], s[36:37], v[154:155], v[134:135]
	v_add_f64 v[138:139], v[138:139], v[242:243]
	v_mul_f64 v[254:255], v[232:233], s[34:35]
	v_pk_mov_b32 v[160:161], v[20:21], v[20:21] op_sel:[0,1]
	v_fma_f64 v[20:21], v[202:203], s[12:13], -v[18:19]
	v_mul_f64 v[12:13], v[210:211], s[46:47]
	v_fma_f64 v[128:129], s[20:21], v[152:153], v[132:133]
	v_add_f64 v[130:131], v[130:131], v[138:139]
	v_mul_f64 v[250:251], v[230:231], s[50:51]
	v_fma_f64 v[16:17], v[184:185], s[24:25], -v[254:255]
	v_add_f64 v[20:21], v[48:49], v[20:21]
	v_mul_f64 v[8:9], v[208:209], s[6:7]
	v_fma_f64 v[14:15], s[4:5], v[146:147], v[12:13]
	v_add_f64 v[128:129], v[128:129], v[130:131]
	v_mul_f64 v[246:247], v[228:229], s[44:45]
	v_fma_f64 v[252:253], v[200:201], s[36:37], -v[250:251]
	v_add_f64 v[16:17], v[16:17], v[20:21]
	v_fmac_f64_e32 v[2:3], s[4:5], v[172:173]
	v_mul_f64 v[4:5], v[206:207], s[22:23]
	v_fma_f64 v[10:11], s[0:1], v[144:145], v[8:9]
	v_add_f64 v[14:15], v[14:15], v[128:129]
	v_mul_f64 v[244:245], v[226:227], s[46:47]
	v_fma_f64 v[248:249], v[190:191], s[20:21], -v[246:247]
	v_add_f64 v[16:17], v[252:253], v[16:17]
	v_add_f64 v[124:125], v[2:3], v[0:1]
	v_mul_f64 v[0:1], v[204:205], s[38:39]
	v_fma_f64 v[6:7], s[16:17], v[142:143], v[4:5]
	v_add_f64 v[10:11], v[10:11], v[14:15]
	v_mul_f64 v[242:243], v[224:225], s[6:7]
	v_fma_f64 v[138:139], v[188:189], s[4:5], -v[244:245]
	v_add_f64 v[16:17], v[248:249], v[16:17]
	v_fma_f64 v[2:3], s[28:29], v[140:141], v[0:1]
	v_add_f64 v[6:7], v[6:7], v[10:11]
	v_mul_f64 v[10:11], v[222:223], s[22:23]
	v_fma_f64 v[128:129], v[186:187], s[0:1], -v[242:243]
	v_add_f64 v[16:17], v[138:139], v[16:17]
	v_add_f64 v[130:131], v[2:3], v[6:7]
	v_mul_f64 v[2:3], v[220:221], s[38:39]
	v_fma_f64 v[14:15], v[174:175], s[16:17], -v[10:11]
	v_add_f64 v[16:17], v[128:129], v[16:17]
	v_fma_f64 v[20:21], v[166:167], s[12:13], -v[240:241]
	v_fma_f64 v[6:7], v[172:173], s[28:29], -v[2:3]
	v_add_f64 v[14:15], v[14:15], v[16:17]
	v_fma_f64 v[16:17], v[164:165], s[24:25], -v[136:137]
	v_add_f64 v[20:21], v[50:51], v[20:21]
	v_add_f64 v[128:129], v[6:7], v[14:15]
	v_fma_f64 v[14:15], v[154:155], s[36:37], -v[134:135]
	v_add_f64 v[16:17], v[16:17], v[20:21]
	v_fma_f64 v[6:7], v[144:145], s[0:1], -v[8:9]
	v_fma_f64 v[8:9], v[146:147], s[4:5], -v[12:13]
	;; [unrolled: 1-line block ×3, first 2 shown]
	v_add_f64 v[14:15], v[14:15], v[16:17]
	v_add_f64 v[12:13], v[12:13], v[14:15]
	;; [unrolled: 1-line block ×3, first 2 shown]
	v_fma_f64 v[4:5], v[142:143], s[16:17], -v[4:5]
	v_add_f64 v[6:7], v[6:7], v[8:9]
	v_fma_f64 v[0:1], v[140:141], s[28:29], -v[0:1]
	v_add_f64 v[4:5], v[4:5], v[6:7]
	v_fmac_f64_e32 v[18:19], s[12:13], v[202:203]
	v_add_f64 v[138:139], v[0:1], v[4:5]
	v_fmac_f64_e32 v[254:255], s[24:25], v[184:185]
	;; [unrolled: 2-line block ×6, first 2 shown]
	v_add_f64 v[0:1], v[244:245], v[0:1]
	v_add_f64 v[0:1], v[242:243], v[0:1]
	v_mul_f64 v[242:243], v[218:219], s[14:15]
	v_mul_f64 v[240:241], v[216:217], s[22:23]
	v_fma_f64 v[134:135], s[4:5], v[166:167], v[242:243]
	v_mul_f64 v[20:21], v[214:215], s[34:35]
	v_fma_f64 v[132:133], s[16:17], v[164:165], v[240:241]
	v_add_f64 v[134:135], v[50:51], v[134:135]
	v_mul_f64 v[26:27], v[234:235], s[14:15]
	v_mul_f64 v[16:17], v[212:213], s[42:43]
	v_fma_f64 v[22:23], s[24:25], v[154:155], v[20:21]
	v_add_f64 v[132:133], v[132:133], v[134:135]
	v_mul_f64 v[254:255], v[232:233], s[22:23]
	v_fma_f64 v[28:29], v[202:203], s[4:5], -v[26:27]
	v_mul_f64 v[12:13], v[210:211], s[48:49]
	v_fma_f64 v[18:19], s[36:37], v[152:153], v[16:17]
	v_add_f64 v[22:23], v[22:23], v[132:133]
	v_mul_f64 v[250:251], v[230:231], s[34:35]
	v_fma_f64 v[24:25], v[184:185], s[16:17], -v[254:255]
	v_add_f64 v[28:29], v[48:49], v[28:29]
	v_fmac_f64_e32 v[10:11], s[16:17], v[174:175]
	v_mul_f64 v[8:9], v[208:209], s[44:45]
	v_fma_f64 v[14:15], s[28:29], v[146:147], v[12:13]
	v_add_f64 v[18:19], v[18:19], v[22:23]
	v_mul_f64 v[246:247], v[228:229], s[42:43]
	v_fma_f64 v[252:253], v[200:201], s[24:25], -v[250:251]
	v_add_f64 v[24:25], v[24:25], v[28:29]
	v_fmac_f64_e32 v[2:3], s[28:29], v[172:173]
	v_add_f64 v[0:1], v[10:11], v[0:1]
	v_mul_f64 v[4:5], v[206:207], s[40:41]
	v_fma_f64 v[10:11], s[20:21], v[144:145], v[8:9]
	v_add_f64 v[14:15], v[14:15], v[18:19]
	v_mul_f64 v[244:245], v[226:227], s[48:49]
	v_fma_f64 v[248:249], v[190:191], s[36:37], -v[246:247]
	v_add_f64 v[24:25], v[252:253], v[24:25]
	v_add_f64 v[136:137], v[2:3], v[0:1]
	v_mul_f64 v[0:1], v[204:205], s[30:31]
	v_fma_f64 v[6:7], s[12:13], v[142:143], v[4:5]
	v_add_f64 v[10:11], v[10:11], v[14:15]
	v_mul_f64 v[18:19], v[224:225], s[44:45]
	v_fma_f64 v[132:133], v[188:189], s[28:29], -v[244:245]
	v_add_f64 v[24:25], v[248:249], v[24:25]
	v_fma_f64 v[2:3], s[0:1], v[140:141], v[0:1]
	v_add_f64 v[6:7], v[6:7], v[10:11]
	v_mul_f64 v[10:11], v[222:223], s[40:41]
	v_fma_f64 v[22:23], v[186:187], s[20:21], -v[18:19]
	v_add_f64 v[24:25], v[132:133], v[24:25]
	v_add_f64 v[134:135], v[2:3], v[6:7]
	v_mul_f64 v[2:3], v[220:221], s[30:31]
	v_fma_f64 v[14:15], v[174:175], s[12:13], -v[10:11]
	v_add_f64 v[22:23], v[22:23], v[24:25]
	v_fma_f64 v[6:7], v[172:173], s[0:1], -v[2:3]
	v_add_f64 v[14:15], v[14:15], v[22:23]
	v_add_f64 v[132:133], v[6:7], v[14:15]
	v_fma_f64 v[14:15], v[154:155], s[24:25], -v[20:21]
	v_fma_f64 v[20:21], v[166:167], s[4:5], -v[242:243]
	;; [unrolled: 1-line block ×6, first 2 shown]
	v_add_f64 v[20:21], v[50:51], v[20:21]
	v_add_f64 v[16:17], v[16:17], v[20:21]
	;; [unrolled: 1-line block ×5, first 2 shown]
	v_fma_f64 v[4:5], v[142:143], s[12:13], -v[4:5]
	v_add_f64 v[6:7], v[6:7], v[8:9]
	v_fma_f64 v[0:1], v[140:141], s[0:1], -v[0:1]
	v_add_f64 v[4:5], v[4:5], v[6:7]
	v_fmac_f64_e32 v[26:27], s[4:5], v[202:203]
	v_add_f64 v[242:243], v[0:1], v[4:5]
	v_fmac_f64_e32 v[254:255], s[16:17], v[184:185]
	;; [unrolled: 2-line block ×3, first 2 shown]
	v_add_f64 v[0:1], v[254:255], v[0:1]
	v_mul_f64 v[28:29], v[218:219], s[6:7]
	v_fmac_f64_e32 v[246:247], s[36:37], v[190:191]
	v_add_f64 v[0:1], v[250:251], v[0:1]
	v_mul_f64 v[24:25], v[216:217], s[14:15]
	v_fma_f64 v[30:31], s[0:1], v[166:167], v[28:29]
	v_fmac_f64_e32 v[244:245], s[28:29], v[188:189]
	v_add_f64 v[0:1], v[246:247], v[0:1]
	v_mul_f64 v[20:21], v[214:215], s[18:19]
	v_fma_f64 v[26:27], s[4:5], v[164:165], v[24:25]
	v_add_f64 v[30:31], v[50:51], v[30:31]
	v_fmac_f64_e32 v[18:19], s[20:21], v[186:187]
	v_add_f64 v[0:1], v[244:245], v[0:1]
	v_mul_f64 v[16:17], v[212:213], s[22:23]
	v_fma_f64 v[22:23], s[12:13], v[154:155], v[20:21]
	v_add_f64 v[26:27], v[26:27], v[30:31]
	v_add_f64 v[0:1], v[18:19], v[0:1]
	v_mul_f64 v[12:13], v[210:211], s[26:27]
	v_fma_f64 v[18:19], s[16:17], v[152:153], v[16:17]
	v_add_f64 v[22:23], v[22:23], v[26:27]
	v_fmac_f64_e32 v[10:11], s[12:13], v[174:175]
	v_mul_f64 v[8:9], v[208:209], s[34:35]
	v_fma_f64 v[14:15], s[20:21], v[146:147], v[12:13]
	v_add_f64 v[18:19], v[18:19], v[22:23]
	v_fmac_f64_e32 v[2:3], s[0:1], v[172:173]
	v_add_f64 v[0:1], v[10:11], v[0:1]
	v_mul_f64 v[4:5], v[206:207], s[38:39]
	v_fma_f64 v[10:11], s[24:25], v[144:145], v[8:9]
	v_add_f64 v[14:15], v[14:15], v[18:19]
	v_add_f64 v[240:241], v[2:3], v[0:1]
	v_mul_f64 v[0:1], v[204:205], s[42:43]
	v_fma_f64 v[6:7], s[28:29], v[142:143], v[4:5]
	v_add_f64 v[10:11], v[10:11], v[14:15]
	v_fma_f64 v[2:3], s[36:37], v[140:141], v[0:1]
	v_add_f64 v[6:7], v[6:7], v[10:11]
	v_mul_f64 v[218:219], v[234:235], s[6:7]
	v_add_f64 v[206:207], v[2:3], v[6:7]
	v_mul_f64 v[2:3], v[220:221], s[42:43]
	v_mul_f64 v[214:215], v[232:233], s[14:15]
	v_fma_f64 v[220:221], v[202:203], s[0:1], -v[218:219]
	v_mul_f64 v[210:211], v[230:231], s[18:19]
	v_fma_f64 v[216:217], v[184:185], s[4:5], -v[214:215]
	v_add_f64 v[220:221], v[48:49], v[220:221]
	v_mul_f64 v[208:209], v[228:229], s[22:23]
	v_fma_f64 v[212:213], v[200:201], s[12:13], -v[210:211]
	v_add_f64 v[216:217], v[216:217], v[220:221]
	;; [unrolled: 3-line block ×5, first 2 shown]
	v_fma_f64 v[14:15], v[174:175], s[28:29], -v[10:11]
	v_add_f64 v[22:23], v[22:23], v[30:31]
	v_fma_f64 v[6:7], v[172:173], s[36:37], -v[2:3]
	v_add_f64 v[14:15], v[14:15], v[22:23]
	v_add_f64 v[204:205], v[6:7], v[14:15]
	v_fma_f64 v[14:15], v[154:155], s[12:13], -v[20:21]
	v_fma_f64 v[20:21], v[166:167], s[0:1], -v[28:29]
	;; [unrolled: 1-line block ×6, first 2 shown]
	v_add_f64 v[20:21], v[50:51], v[20:21]
	v_add_f64 v[16:17], v[16:17], v[20:21]
	;; [unrolled: 1-line block ×5, first 2 shown]
	v_fma_f64 v[4:5], v[142:143], s[28:29], -v[4:5]
	v_add_f64 v[6:7], v[6:7], v[8:9]
	v_fma_f64 v[0:1], v[140:141], s[36:37], -v[0:1]
	v_add_f64 v[4:5], v[4:5], v[6:7]
	v_fmac_f64_e32 v[218:219], s[0:1], v[202:203]
	v_add_f64 v[142:143], v[0:1], v[4:5]
	v_fmac_f64_e32 v[214:215], s[4:5], v[184:185]
	;; [unrolled: 2-line block ×8, first 2 shown]
	v_add_f64 v[0:1], v[10:11], v[0:1]
	v_add_f64 v[140:141], v[2:3], v[0:1]
	;; [unrolled: 1-line block ×34, first 2 shown]
	buffer_load_dword v0, off, s[64:67], 0 offset:96 ; 4-byte Folded Reload
	v_accvgpr_read_b32 v151, a77
	v_accvgpr_read_b32 v159, a97
	;; [unrolled: 1-line block ×28, first 2 shown]
	s_waitcnt vmcnt(0)
	v_lshlrev_b32_e32 v0, 4, v0
	ds_write_b128 v0, v[48:51]
	ds_write_b128 v0, v[140:143] offset:16
	ds_write_b128 v0, v[240:243] offset:32
	;; [unrolled: 1-line block ×16, first 2 shown]
.LBB0_13:
	s_or_b64 exec, exec, s[56:57]
	s_waitcnt lgkmcnt(0)
	; wave barrier
	s_waitcnt lgkmcnt(0)
	ds_read_b128 v[52:55], v236 offset:7344
	ds_read_b128 v[48:51], v236 offset:6528
	v_accvgpr_read_b32 v2, a106
	v_accvgpr_read_b32 v4, a108
	v_accvgpr_read_b32 v5, a109
	v_accvgpr_read_b32 v3, a107
	s_waitcnt lgkmcnt(1)
	v_mul_f64 v[164:165], v[4:5], v[54:55]
	v_mul_f64 v[0:1], v[4:5], v[52:53]
	v_fmac_f64_e32 v[164:165], v[2:3], v[52:53]
	v_fma_f64 v[166:167], v[2:3], v[54:55], -v[0:1]
	ds_read_b128 v[52:55], v236 offset:14688
	ds_read_b128 v[56:59], v236 offset:15504
	v_accvgpr_read_b32 v2, a102
	v_accvgpr_read_b32 v4, a104
	v_accvgpr_read_b32 v5, a105
	v_accvgpr_read_b32 v3, a103
	s_waitcnt lgkmcnt(1)
	v_mul_f64 v[172:173], v[4:5], v[54:55]
	v_mul_f64 v[0:1], v[4:5], v[52:53]
	v_fmac_f64_e32 v[172:173], v[2:3], v[52:53]
	v_fma_f64 v[174:175], v[2:3], v[54:55], -v[0:1]
	;; [unrolled: 11-line block ×3, first 2 shown]
	v_accvgpr_read_b32 v2, a110
	v_accvgpr_read_b32 v4, a112
	v_accvgpr_read_b32 v5, a113
	v_accvgpr_read_b32 v3, a111
	v_mul_f64 v[152:153], v[4:5], v[58:59]
	v_mul_f64 v[0:1], v[4:5], v[56:57]
	v_fmac_f64_e32 v[152:153], v[2:3], v[56:57]
	v_fma_f64 v[154:155], v[2:3], v[58:59], -v[0:1]
	v_accvgpr_read_b32 v2, a122
	v_accvgpr_read_b32 v4, a124
	v_accvgpr_read_b32 v5, a125
	ds_read_b128 v[52:55], v236 offset:16320
	ds_read_b128 v[56:59], v236 offset:17136
	v_accvgpr_read_b32 v3, a123
	s_waitcnt lgkmcnt(2)
	v_mul_f64 v[136:137], v[4:5], v[62:63]
	v_mul_f64 v[0:1], v[4:5], v[60:61]
	v_fmac_f64_e32 v[136:137], v[2:3], v[60:61]
	v_fma_f64 v[138:139], v[2:3], v[62:63], -v[0:1]
	v_accvgpr_read_b32 v2, a118
	v_accvgpr_read_b32 v4, a120
	v_accvgpr_read_b32 v5, a121
	v_accvgpr_read_b32 v3, a119
	s_waitcnt lgkmcnt(1)
	v_mul_f64 v[140:141], v[4:5], v[54:55]
	v_mul_f64 v[0:1], v[4:5], v[52:53]
	v_fmac_f64_e32 v[140:141], v[2:3], v[52:53]
	v_fma_f64 v[142:143], v[2:3], v[54:55], -v[0:1]
	ds_read_b128 v[52:55], v236 offset:9792
	ds_read_b128 v[60:63], v236 offset:10608
	v_accvgpr_read_b32 v2, a130
	v_accvgpr_read_b32 v4, a132
	v_accvgpr_read_b32 v5, a133
	v_accvgpr_read_b32 v3, a131
	s_waitcnt lgkmcnt(1)
	v_mul_f64 v[128:129], v[4:5], v[54:55]
	v_mul_f64 v[0:1], v[4:5], v[52:53]
	v_fmac_f64_e32 v[128:129], v[2:3], v[52:53]
	v_fma_f64 v[130:131], v[2:3], v[54:55], -v[0:1]
	v_accvgpr_read_b32 v2, a126
	v_accvgpr_read_b32 v4, a128
	v_accvgpr_read_b32 v5, a129
	v_accvgpr_read_b32 v3, a127
	v_mul_f64 v[132:133], v[4:5], v[58:59]
	v_mul_f64 v[0:1], v[4:5], v[56:57]
	v_fmac_f64_e32 v[132:133], v[2:3], v[56:57]
	v_fma_f64 v[134:135], v[2:3], v[58:59], -v[0:1]
	v_accvgpr_read_b32 v2, a138
	v_accvgpr_read_b32 v4, a140
	v_accvgpr_read_b32 v5, a141
	ds_read_b128 v[52:55], v236 offset:17952
	ds_read_b128 v[56:59], v236 offset:18768
	v_accvgpr_read_b32 v3, a139
	s_waitcnt lgkmcnt(2)
	v_mul_f64 v[120:121], v[4:5], v[62:63]
	v_mul_f64 v[0:1], v[4:5], v[60:61]
	v_fmac_f64_e32 v[120:121], v[2:3], v[60:61]
	v_fma_f64 v[122:123], v[2:3], v[62:63], -v[0:1]
	v_accvgpr_read_b32 v2, a134
	v_accvgpr_read_b32 v4, a136
	v_accvgpr_read_b32 v5, a137
	v_accvgpr_read_b32 v3, a135
	s_waitcnt lgkmcnt(1)
	v_mul_f64 v[124:125], v[4:5], v[54:55]
	v_mul_f64 v[0:1], v[4:5], v[52:53]
	v_fmac_f64_e32 v[124:125], v[2:3], v[52:53]
	v_fma_f64 v[126:127], v[2:3], v[54:55], -v[0:1]
	ds_read_b128 v[52:55], v236 offset:11424
	ds_read_b128 v[60:63], v236 offset:12240
	v_accvgpr_read_b32 v2, a146
	v_accvgpr_read_b32 v4, a148
	v_accvgpr_read_b32 v5, a149
	v_accvgpr_read_b32 v3, a147
	s_waitcnt lgkmcnt(1)
	v_mul_f64 v[112:113], v[4:5], v[54:55]
	v_mul_f64 v[0:1], v[4:5], v[52:53]
	v_fmac_f64_e32 v[112:113], v[2:3], v[52:53]
	v_fma_f64 v[114:115], v[2:3], v[54:55], -v[0:1]
	;; [unrolled: 39-line block ×3, first 2 shown]
	v_accvgpr_read_b32 v2, a158
	v_accvgpr_read_b32 v4, a160
	;; [unrolled: 1-line block ×4, first 2 shown]
	v_mul_f64 v[104:105], v[4:5], v[58:59]
	v_mul_f64 v[0:1], v[4:5], v[56:57]
	v_fmac_f64_e32 v[104:105], v[2:3], v[56:57]
	v_fma_f64 v[110:111], v[2:3], v[58:59], -v[0:1]
	v_accvgpr_read_b32 v2, a172
	ds_read_b128 v[52:55], v236 offset:21216
	v_accvgpr_read_b32 v4, a174
	v_accvgpr_read_b32 v5, a175
	;; [unrolled: 1-line block ×3, first 2 shown]
	s_waitcnt lgkmcnt(1)
	v_mul_f64 v[90:91], v[4:5], v[62:63]
	v_mul_f64 v[0:1], v[4:5], v[60:61]
	ds_read_b128 v[80:83], v236
	ds_read_b128 v[76:79], v236 offset:816
	v_fmac_f64_e32 v[90:91], v[2:3], v[60:61]
	v_fma_f64 v[96:97], v[2:3], v[62:63], -v[0:1]
	v_accvgpr_read_b32 v2, a168
	v_accvgpr_read_b32 v4, a170
	;; [unrolled: 1-line block ×4, first 2 shown]
	s_waitcnt lgkmcnt(2)
	v_mul_f64 v[0:1], v[4:5], v[52:53]
	v_fma_f64 v[106:107], v[2:3], v[54:55], -v[0:1]
	s_waitcnt lgkmcnt(1)
	v_add_f64 v[0:1], v[80:81], v[164:165]
	v_mul_f64 v[98:99], v[4:5], v[54:55]
	v_add_f64 v[84:85], v[0:1], v[172:173]
	v_add_f64 v[0:1], v[82:83], v[166:167]
	v_fmac_f64_e32 v[98:99], v[2:3], v[52:53]
	v_add_f64 v[86:87], v[0:1], v[174:175]
	v_add_f64 v[0:1], v[164:165], v[172:173]
	;; [unrolled: 1-line block ×3, first 2 shown]
	s_mov_b32 s0, 0xe8584caa
	v_fmac_f64_e32 v[80:81], -0.5, v[0:1]
	v_add_f64 v[0:1], v[166:167], -v[174:175]
	v_fmac_f64_e32 v[82:83], -0.5, v[2:3]
	v_add_f64 v[2:3], v[164:165], -v[172:173]
	s_mov_b32 s1, 0xbfebb67a
	s_mov_b32 s5, 0x3febb67a
	;; [unrolled: 1-line block ×3, first 2 shown]
	ds_read_b128 v[72:75], v236 offset:1632
	ds_read_b128 v[68:71], v236 offset:2448
	ds_read_b128 v[64:67], v236 offset:3264
	ds_read_b128 v[60:63], v236 offset:4080
	ds_read_b128 v[56:59], v236 offset:4896
	ds_read_b128 v[52:55], v236 offset:5712
	s_waitcnt lgkmcnt(0)
	; wave barrier
	s_waitcnt lgkmcnt(0)
	ds_write_b128 v238, v[84:87]
	v_fma_f64 v[84:85], s[0:1], v[0:1], v[80:81]
	v_fma_f64 v[86:87], s[4:5], v[2:3], v[82:83]
	v_fmac_f64_e32 v[80:81], s[4:5], v[0:1]
	v_fmac_f64_e32 v[82:83], s[0:1], v[2:3]
	v_add_f64 v[0:1], v[76:77], v[144:145]
	ds_write_b128 v238, v[80:83] offset:544
	v_add_f64 v[80:81], v[0:1], v[152:153]
	v_add_f64 v[0:1], v[78:79], v[146:147]
	;; [unrolled: 1-line block ×5, first 2 shown]
	v_accvgpr_read_b32 v4, a180
	v_fmac_f64_e32 v[76:77], -0.5, v[0:1]
	v_add_f64 v[0:1], v[146:147], -v[154:155]
	v_fmac_f64_e32 v[78:79], -0.5, v[2:3]
	v_add_f64 v[2:3], v[144:145], -v[152:153]
	ds_write_b128 v238, v[84:87] offset:272
	ds_write_b128 v4, v[80:83]
	v_fma_f64 v[80:81], s[0:1], v[0:1], v[76:77]
	v_fma_f64 v[82:83], s[4:5], v[2:3], v[78:79]
	v_fmac_f64_e32 v[76:77], s[4:5], v[0:1]
	v_fmac_f64_e32 v[78:79], s[0:1], v[2:3]
	v_add_f64 v[0:1], v[72:73], v[136:137]
	ds_write_b128 v4, v[76:79] offset:544
	v_add_f64 v[76:77], v[0:1], v[140:141]
	v_add_f64 v[0:1], v[74:75], v[138:139]
	v_add_f64 v[78:79], v[0:1], v[142:143]
	v_add_f64 v[0:1], v[136:137], v[140:141]
	v_add_f64 v[2:3], v[138:139], v[142:143]
	ds_write_b128 v4, v[80:83] offset:272
	v_accvgpr_read_b32 v4, a3
	v_fmac_f64_e32 v[72:73], -0.5, v[0:1]
	v_add_f64 v[0:1], v[138:139], -v[142:143]
	v_fmac_f64_e32 v[74:75], -0.5, v[2:3]
	v_add_f64 v[2:3], v[136:137], -v[140:141]
	ds_write_b128 v4, v[76:79]
	v_fma_f64 v[76:77], s[0:1], v[0:1], v[72:73]
	v_fma_f64 v[78:79], s[4:5], v[2:3], v[74:75]
	v_fmac_f64_e32 v[72:73], s[4:5], v[0:1]
	v_fmac_f64_e32 v[74:75], s[0:1], v[2:3]
	v_add_f64 v[0:1], v[68:69], v[128:129]
	ds_write_b128 v4, v[72:75] offset:544
	v_add_f64 v[72:73], v[0:1], v[132:133]
	v_add_f64 v[0:1], v[70:71], v[130:131]
	v_add_f64 v[74:75], v[0:1], v[134:135]
	v_add_f64 v[0:1], v[128:129], v[132:133]
	v_add_f64 v[2:3], v[130:131], v[134:135]
	ds_write_b128 v4, v[76:79] offset:272
	v_accvgpr_read_b32 v4, a255
	v_fmac_f64_e32 v[68:69], -0.5, v[0:1]
	v_add_f64 v[0:1], v[130:131], -v[134:135]
	v_fmac_f64_e32 v[70:71], -0.5, v[2:3]
	v_add_f64 v[2:3], v[128:129], -v[132:133]
	;; [unrolled: 18-line block ×4, first 2 shown]
	ds_write_b128 v4, v[64:67]
	v_fma_f64 v[64:65], s[0:1], v[0:1], v[60:61]
	v_fma_f64 v[66:67], s[4:5], v[2:3], v[62:63]
	v_fmac_f64_e32 v[60:61], s[4:5], v[0:1]
	v_add_f64 v[0:1], v[56:57], v[88:89]
	ds_write_b128 v4, v[64:67] offset:272
	v_add_f64 v[64:65], v[0:1], v[100:101]
	v_add_f64 v[0:1], v[58:59], v[94:95]
	;; [unrolled: 1-line block ×4, first 2 shown]
	v_fmac_f64_e32 v[62:63], s[0:1], v[2:3]
	v_fmac_f64_e32 v[58:59], -0.5, v[0:1]
	v_add_f64 v[0:1], v[88:89], -v[100:101]
	ds_write_b128 v4, v[60:63] offset:544
	v_fma_f64 v[62:63], s[4:5], v[0:1], v[58:59]
	v_fmac_f64_e32 v[58:59], s[0:1], v[0:1]
	v_add_f64 v[0:1], v[52:53], v[92:93]
	v_add_f64 v[72:73], v[0:1], v[104:105]
	;; [unrolled: 1-line block ×5, first 2 shown]
	v_fmac_f64_e32 v[54:55], -0.5, v[0:1]
	v_add_f64 v[0:1], v[92:93], -v[104:105]
	v_add_f64 v[2:3], v[88:89], v[100:101]
	v_fma_f64 v[70:71], s[4:5], v[0:1], v[54:55]
	v_fmac_f64_e32 v[54:55], s[0:1], v[0:1]
	v_add_f64 v[0:1], v[48:49], v[90:91]
	v_fmac_f64_e32 v[56:57], -0.5, v[2:3]
	v_add_f64 v[2:3], v[94:95], -v[108:109]
	v_add_f64 v[80:81], v[0:1], v[98:99]
	v_add_f64 v[0:1], v[50:51], v[96:97]
	v_fma_f64 v[60:61], s[0:1], v[2:3], v[56:57]
	v_fmac_f64_e32 v[56:57], s[4:5], v[2:3]
	v_add_f64 v[2:3], v[92:93], v[104:105]
	v_add_f64 v[82:83], v[0:1], v[106:107]
	;; [unrolled: 1-line block ×3, first 2 shown]
	v_fmac_f64_e32 v[52:53], -0.5, v[2:3]
	v_add_f64 v[2:3], v[102:103], -v[110:111]
	v_fmac_f64_e32 v[50:51], -0.5, v[0:1]
	v_add_f64 v[0:1], v[90:91], -v[98:99]
	v_fma_f64 v[68:69], s[0:1], v[2:3], v[52:53]
	v_fmac_f64_e32 v[52:53], s[4:5], v[2:3]
	v_add_f64 v[2:3], v[90:91], v[98:99]
	v_fma_f64 v[78:79], s[4:5], v[0:1], v[50:51]
	v_fmac_f64_e32 v[50:51], s[0:1], v[0:1]
	v_accvgpr_read_b32 v0, a5
	v_fmac_f64_e32 v[48:49], -0.5, v[2:3]
	v_add_f64 v[2:3], v[96:97], -v[106:107]
	ds_write_b128 v0, v[64:67]
	ds_write_b128 v0, v[60:63] offset:272
	ds_write_b128 v0, v[56:59] offset:544
	v_accvgpr_read_b32 v0, a166
	v_fma_f64 v[76:77], s[0:1], v[2:3], v[48:49]
	v_fmac_f64_e32 v[48:49], s[4:5], v[2:3]
	ds_write_b128 v0, v[72:75]
	ds_write_b128 v0, v[68:71] offset:272
	ds_write_b128 v0, v[52:55] offset:544
	v_accvgpr_read_b32 v0, a167
	ds_write_b128 v0, v[80:83]
	ds_write_b128 v0, v[76:79] offset:272
	ds_write_b128 v0, v[48:51] offset:544
	s_waitcnt lgkmcnt(0)
	; wave barrier
	s_waitcnt lgkmcnt(0)
	ds_read_b128 v[56:59], v236 offset:4896
	ds_read_b128 v[52:55], v236 offset:5712
	;; [unrolled: 1-line block ×8, first 2 shown]
	s_waitcnt lgkmcnt(5)
	v_mul_f64 v[0:1], v[194:195], v[62:63]
	s_waitcnt lgkmcnt(3)
	v_mul_f64 v[4:5], v[194:195], v[64:65]
	v_mul_f64 v[2:3], v[194:195], v[60:61]
	v_fma_f64 v[138:139], v[192:193], v[66:67], -v[4:5]
	v_mul_f64 v[4:5], v[182:183], v[58:59]
	v_mul_f64 v[6:7], v[182:183], v[56:57]
	v_fmac_f64_e32 v[0:1], v[192:193], v[60:61]
	v_fma_f64 v[2:3], v[192:193], v[62:63], -v[2:3]
	v_mul_f64 v[136:137], v[194:195], v[66:67]
	ds_read_b128 v[60:63], v236 offset:8160
	ds_read_b128 v[80:83], v236 offset:8976
	v_fmac_f64_e32 v[4:5], v[180:181], v[56:57]
	v_fma_f64 v[6:7], v[180:181], v[58:59], -v[6:7]
	ds_read_b128 v[56:59], v236 offset:9792
	v_fmac_f64_e32 v[136:137], v[192:193], v[64:65]
	ds_read_b128 v[64:67], v236 offset:10608
	v_mul_f64 v[12:13], v[182:183], v[52:53]
	v_mul_f64 v[166:167], v[182:183], v[54:55]
	v_fma_f64 v[182:183], v[180:181], v[54:55], -v[12:13]
	s_waitcnt lgkmcnt(3)
	v_mul_f64 v[12:13], v[178:179], v[60:61]
	v_fma_f64 v[184:185], v[176:177], v[62:63], -v[12:13]
	s_waitcnt lgkmcnt(1)
	v_mul_f64 v[12:13], v[170:171], v[56:57]
	v_fmac_f64_e32 v[166:167], v[180:181], v[52:53]
	v_mul_f64 v[180:181], v[178:179], v[62:63]
	v_fma_f64 v[52:53], v[168:169], v[58:59], -v[12:13]
	s_waitcnt lgkmcnt(0)
	v_mul_f64 v[62:63], v[170:171], v[66:67]
	v_mul_f64 v[12:13], v[170:171], v[64:65]
	;; [unrolled: 1-line block ×4, first 2 shown]
	v_fmac_f64_e32 v[180:181], v[176:177], v[60:61]
	v_fmac_f64_e32 v[62:63], v[168:169], v[64:65]
	v_fma_f64 v[60:61], v[168:169], v[66:67], -v[12:13]
	ds_read_b128 v[64:67], v236 offset:12240
	ds_read_b128 v[84:87], v236 offset:11424
	v_fmac_f64_e32 v[8:9], v[176:177], v[72:73]
	v_fma_f64 v[10:11], v[176:177], v[74:75], -v[10:11]
	ds_read_b128 v[72:75], v236 offset:13056
	ds_read_b128 v[88:91], v236 offset:13872
	v_mul_f64 v[54:55], v[170:171], v[58:59]
	s_waitcnt lgkmcnt(3)
	v_mul_f64 v[12:13], v[198:199], v[64:65]
	v_fmac_f64_e32 v[54:55], v[168:169], v[56:57]
	v_mul_f64 v[58:59], v[198:199], v[66:67]
	v_fma_f64 v[56:57], v[196:197], v[66:67], -v[12:13]
	s_waitcnt lgkmcnt(1)
	v_mul_f64 v[66:67], v[198:199], v[74:75]
	v_mul_f64 v[12:13], v[198:199], v[72:73]
	v_fmac_f64_e32 v[58:59], v[196:197], v[64:65]
	v_fmac_f64_e32 v[66:67], v[196:197], v[72:73]
	v_fma_f64 v[64:65], v[196:197], v[74:75], -v[12:13]
	ds_read_b128 v[72:75], v236 offset:14688
	ds_read_b128 v[92:95], v236 offset:15504
	v_accvgpr_read_b32 v26, a206
	v_accvgpr_read_b32 v28, a208
	;; [unrolled: 1-line block ×3, first 2 shown]
	s_waitcnt lgkmcnt(1)
	v_mul_f64 v[12:13], v[162:163], v[74:75]
	v_mul_f64 v[14:15], v[162:163], v[72:73]
	s_waitcnt lgkmcnt(0)
	v_mul_f64 v[168:169], v[162:163], v[94:95]
	v_mul_f64 v[16:17], v[162:163], v[92:93]
	v_fmac_f64_e32 v[12:13], v[160:161], v[72:73]
	v_fma_f64 v[14:15], v[160:161], v[74:75], -v[14:15]
	v_fmac_f64_e32 v[168:169], v[160:161], v[92:93]
	v_fma_f64 v[186:187], v[160:161], v[94:95], -v[16:17]
	ds_read_b128 v[72:75], v236 offset:17136
	ds_read_b128 v[92:95], v236 offset:16320
	v_accvgpr_read_b32 v27, a207
	v_mul_f64 v[122:123], v[28:29], v[70:71]
	v_fmac_f64_e32 v[122:123], v[26:27], v[68:69]
	s_waitcnt lgkmcnt(1)
	v_mul_f64 v[16:17], v[158:159], v[74:75]
	v_mul_f64 v[18:19], v[158:159], v[72:73]
	v_fmac_f64_e32 v[16:17], v[156:157], v[72:73]
	v_fma_f64 v[18:19], v[156:157], v[74:75], -v[18:19]
	ds_read_b128 v[72:75], v236 offset:17952
	ds_read_b128 v[96:99], v236 offset:18768
	v_add_f64 v[104:105], v[10:11], v[14:15]
	v_add_f64 v[112:113], v[54:55], v[58:59]
	v_add_f64 v[118:119], v[52:53], -v[56:57]
	s_waitcnt lgkmcnt(1)
	v_mul_f64 v[160:161], v[158:159], v[74:75]
	v_mul_f64 v[20:21], v[158:159], v[72:73]
	v_fmac_f64_e32 v[160:161], v[156:157], v[72:73]
	v_fma_f64 v[162:163], v[156:157], v[74:75], -v[20:21]
	ds_read_b128 v[72:75], v236 offset:19584
	ds_read_b128 v[100:103], v236 offset:20400
	v_add_f64 v[116:117], v[52:53], v[56:57]
	s_mov_b32 s16, 0x8c811c17
	s_mov_b32 s22, 0x523c161c
	s_waitcnt lgkmcnt(1)
	v_mul_f64 v[20:21], v[150:151], v[74:75]
	v_mul_f64 v[22:23], v[150:151], v[72:73]
	s_waitcnt lgkmcnt(0)
	v_mul_f64 v[154:155], v[150:151], v[102:103]
	v_mul_f64 v[24:25], v[150:151], v[100:101]
	v_fmac_f64_e32 v[20:21], v[148:149], v[72:73]
	v_fma_f64 v[22:23], v[148:149], v[74:75], -v[22:23]
	v_fmac_f64_e32 v[154:155], v[148:149], v[100:101]
	v_fma_f64 v[148:149], v[148:149], v[102:103], -v[24:25]
	v_mul_f64 v[24:25], v[28:29], v[68:69]
	v_fma_f64 v[124:125], v[26:27], v[70:71], -v[24:25]
	v_accvgpr_read_b32 v26, a194
	v_accvgpr_read_b32 v28, a196
	v_accvgpr_read_b32 v29, a197
	v_accvgpr_read_b32 v27, a195
	v_mul_f64 v[126:127], v[28:29], v[78:79]
	v_mul_f64 v[24:25], v[28:29], v[76:77]
	v_fmac_f64_e32 v[126:127], v[26:27], v[76:77]
	v_fma_f64 v[130:131], v[26:27], v[78:79], -v[24:25]
	v_accvgpr_read_b32 v26, a186
	v_accvgpr_read_b32 v28, a188
	v_accvgpr_read_b32 v29, a189
	v_accvgpr_read_b32 v27, a187
	v_mul_f64 v[132:133], v[28:29], v[82:83]
	v_mul_f64 v[24:25], v[28:29], v[80:81]
	v_fmac_f64_e32 v[132:133], v[26:27], v[80:81]
	;; [unrolled: 8-line block ×5, first 2 shown]
	v_fma_f64 v[142:143], v[26:27], v[94:95], -v[24:25]
	v_accvgpr_read_b32 v26, a198
	v_accvgpr_read_b32 v28, a200
	;; [unrolled: 1-line block ×3, first 2 shown]
	ds_read_b128 v[68:71], v236 offset:21216
	v_accvgpr_read_b32 v27, a199
	v_mul_f64 v[24:25], v[28:29], v[96:97]
	v_mul_f64 v[144:145], v[28:29], v[98:99]
	v_fma_f64 v[146:147], v[26:27], v[98:99], -v[24:25]
	v_add_f64 v[90:91], v[0:1], v[20:21]
	v_add_f64 v[92:93], v[2:3], v[22:23]
	;; [unrolled: 1-line block ×4, first 2 shown]
	v_fmac_f64_e32 v[144:145], v[26:27], v[96:97]
	v_accvgpr_read_b32 v26, a190
	v_add_f64 v[100:101], v[8:9], v[12:13]
	v_add_f64 v[110:111], v[88:89], v[90:91]
	;; [unrolled: 1-line block ×3, first 2 shown]
	v_accvgpr_read_b32 v28, a192
	v_accvgpr_read_b32 v29, a193
	v_add_f64 v[84:85], v[0:1], -v[20:21]
	v_add_f64 v[86:87], v[2:3], -v[22:23]
	v_add_f64 v[0:1], v[100:101], v[110:111]
	v_add_f64 v[2:3], v[104:105], v[114:115]
	v_accvgpr_read_b32 v27, a191
	s_waitcnt lgkmcnt(0)
	v_mul_f64 v[172:173], v[28:29], v[70:71]
	v_mul_f64 v[24:25], v[28:29], v[68:69]
	v_add_f64 v[0:1], v[54:55], v[0:1]
	v_add_f64 v[2:3], v[52:53], v[2:3]
	v_fmac_f64_e32 v[172:173], v[26:27], v[68:69]
	v_fma_f64 v[174:175], v[26:27], v[70:71], -v[24:25]
	v_add_f64 v[102:103], v[54:55], -v[58:59]
	v_add_f64 v[0:1], v[58:59], v[0:1]
	v_add_f64 v[2:3], v[56:57], v[2:3]
	ds_read_b128 v[56:59], v236
	ds_read_b128 v[68:71], v236 offset:816
	s_mov_b32 s17, 0x3fef838b
	v_add_f64 v[94:95], v[4:5], -v[16:17]
	s_mov_b32 s23, 0x3fe491b7
	s_waitcnt lgkmcnt(1)
	v_add_f64 v[80:81], v[56:57], v[0:1]
	s_mov_b32 s21, 0xbfe491b7
	s_mov_b32 s20, s22
	v_mul_f64 v[0:1], v[102:103], s[16:17]
	v_add_f64 v[152:153], v[136:137], v[154:155]
	v_add_f64 v[136:137], v[136:137], -v[154:155]
	v_add_f64 v[154:155], v[166:167], v[160:161]
	v_add_f64 v[96:97], v[6:7], -v[18:19]
	v_fma_f64 v[120:121], v[94:95], s[20:21], -v[0:1]
	v_mul_f64 v[0:1], v[118:119], s[16:17]
	v_add_f64 v[156:157], v[138:139], v[148:149]
	v_add_f64 v[138:139], v[138:139], -v[148:149]
	v_add_f64 v[148:149], v[166:167], -v[160:161]
	v_add_f64 v[158:159], v[182:183], v[162:163]
	v_add_f64 v[160:161], v[180:181], v[168:169]
	v_add_f64 v[168:169], v[180:181], -v[168:169]
	v_add_f64 v[180:181], v[154:155], v[152:153]
	v_fma_f64 v[128:129], v[96:97], s[20:21], -v[0:1]
	v_add_f64 v[150:151], v[182:183], -v[162:163]
	v_add_f64 v[162:163], v[184:185], v[186:187]
	v_add_f64 v[166:167], v[184:185], -v[186:187]
	v_add_f64 v[0:1], v[160:161], v[180:181]
	v_add_f64 v[184:185], v[158:159], v[156:157]
	;; [unrolled: 1-line block ×3, first 2 shown]
	s_mov_b32 s24, 0xa2cf5039
	v_add_f64 v[0:1], v[62:63], v[0:1]
	v_add_f64 v[2:3], v[162:163], v[184:185]
	s_mov_b32 s25, 0x3fe8836f
	s_mov_b32 s18, 0x7e0b738b
	v_add_f64 v[188:189], v[62:63], -v[66:67]
	v_add_f64 v[0:1], v[66:67], v[0:1]
	v_add_f64 v[2:3], v[60:61], v[2:3]
	s_mov_b32 s19, 0x3fc63a1a
	v_fma_f64 v[176:177], s[24:25], v[90:91], v[56:57]
	v_add_f64 v[194:195], v[60:61], -v[64:65]
	v_add_f64 v[190:191], v[60:61], v[64:65]
	v_add_f64 v[2:3], v[64:65], v[2:3]
	s_waitcnt lgkmcnt(0)
	v_add_f64 v[64:65], v[68:69], v[0:1]
	v_mul_f64 v[0:1], v[188:189], s[16:17]
	v_add_f64 v[204:205], v[122:123], v[172:173]
	v_add_f64 v[206:207], v[126:127], v[144:145]
	v_mul_f64 v[20:21], v[86:87], s[22:23]
	v_add_f64 v[106:107], v[10:11], -v[14:15]
	s_mov_b32 s6, 0xe8584cab
	s_mov_b32 s7, s5
	;; [unrolled: 1-line block ×4, first 2 shown]
	v_fma_f64 v[186:187], v[148:149], s[20:21], -v[0:1]
	v_mul_f64 v[0:1], v[194:195], s[16:17]
	v_add_f64 v[208:209], v[124:125], v[174:175]
	v_add_f64 v[210:211], v[130:131], v[146:147]
	;; [unrolled: 1-line block ×4, first 2 shown]
	v_fmac_f64_e32 v[20:21], s[16:17], v[96:97]
	v_fmac_f64_e32 v[176:177], s[18:19], v[88:89]
	s_mov_b32 s13, 0x3fd5e3a8
	s_mov_b32 s15, 0xbfee11f6
	v_fma_f64 v[192:193], v[150:151], s[20:21], -v[0:1]
	v_add_f64 v[216:217], v[132:133], -v[140:141]
	v_add_f64 v[132:133], v[134:135], v[142:143]
	v_add_f64 v[0:1], v[212:213], v[224:225]
	;; [unrolled: 1-line block ×3, first 2 shown]
	v_fmac_f64_e32 v[20:21], s[6:7], v[106:107]
	v_fmac_f64_e32 v[176:177], -0.5, v[100:101]
	v_add_f64 v[108:109], v[8:9], -v[12:13]
	v_add_f64 v[0:1], v[74:75], v[0:1]
	v_add_f64 v[8:9], v[132:133], v[6:7]
	v_fmac_f64_e32 v[20:21], s[12:13], v[118:119]
	v_fmac_f64_e32 v[176:177], s[14:15], v[112:113]
	v_add_f64 v[182:183], v[62:63], v[66:67]
	v_add_f64 v[66:67], v[70:71], v[2:3]
	v_add_f64 v[200:201], v[126:127], -v[144:145]
	v_add_f64 v[2:3], v[74:75], -v[78:79]
	v_add_f64 v[0:1], v[78:79], v[0:1]
	v_add_f64 v[8:9], v[72:73], v[8:9]
	v_add_f64 v[144:145], v[176:177], -v[20:21]
	v_fma_f64 v[178:179], s[24:25], v[92:93], v[58:59]
	v_add_f64 v[10:11], v[72:73], -v[76:77]
	v_add_f64 v[12:13], v[72:73], v[76:77]
	v_add_f64 v[8:9], v[76:77], v[8:9]
	;; [unrolled: 1-line block ×3, first 2 shown]
	v_mul_f64 v[0:1], v[2:3], s[16:17]
	s_waitcnt lgkmcnt(0)
	; wave barrier
	ds_write_b128 v236, v[80:83]
	v_mul_f64 v[18:19], v[84:85], s[22:23]
	v_pk_mov_b32 v[80:81], v[144:145], v[144:145] op_sel:[0,1]
	v_fma_f64 v[164:165], s[24:25], v[112:113], v[56:57]
	v_add_f64 v[196:197], v[122:123], -v[172:173]
	v_add_f64 v[202:203], v[130:131], -v[146:147]
	v_add_f64 v[4:5], v[74:75], v[78:79]
	v_fma_f64 v[172:173], v[200:201], s[20:21], -v[0:1]
	v_mul_f64 v[0:1], v[10:11], s[16:17]
	v_fmac_f64_e32 v[18:19], s[16:17], v[94:95]
	v_fmac_f64_e32 v[178:179], s[18:19], v[98:99]
	v_fmac_f64_e32 v[80:81], 2.0, v[20:21]
	v_mul_f64 v[20:21], v[118:119], s[20:21]
	v_add_f64 v[52:53], v[56:57], v[100:101]
	v_add_f64 v[54:55], v[58:59], v[104:105]
	v_fmac_f64_e32 v[56:57], s[24:25], v[88:89]
	v_fma_f64 v[170:171], s[24:25], v[116:117], v[58:59]
	v_fmac_f64_e32 v[58:59], s[24:25], v[98:99]
	v_add_f64 v[60:61], v[68:69], v[160:161]
	v_add_f64 v[62:63], v[70:71], v[162:163]
	v_fma_f64 v[220:221], s[24:25], v[152:153], v[68:69]
	v_fma_f64 v[214:215], s[24:25], v[182:183], v[68:69]
	v_fmac_f64_e32 v[68:69], s[24:25], v[154:155]
	v_fma_f64 v[222:223], s[24:25], v[156:157], v[70:71]
	v_fma_f64 v[218:219], s[24:25], v[190:191], v[70:71]
	v_fmac_f64_e32 v[70:71], s[24:25], v[158:159]
	v_add_f64 v[198:199], v[124:125], -v[174:175]
	v_add_f64 v[78:79], v[50:51], v[8:9]
	v_add_f64 v[72:73], v[48:49], v[212:213]
	;; [unrolled: 1-line block ×3, first 2 shown]
	v_fma_f64 v[174:175], v[202:203], s[20:21], -v[0:1]
	v_fma_f64 v[0:1], s[24:25], v[204:205], v[48:49]
	v_fma_f64 v[8:9], s[24:25], v[4:5], v[48:49]
	v_fmac_f64_e32 v[48:49], s[24:25], v[206:207]
	v_fma_f64 v[14:15], s[24:25], v[208:209], v[50:51]
	v_fma_f64 v[16:17], s[24:25], v[12:13], v[50:51]
	v_fmac_f64_e32 v[50:51], s[24:25], v[210:211]
	v_fmac_f64_e32 v[18:19], s[6:7], v[108:109]
	v_fmac_f64_e32 v[178:179], -0.5, v[104:105]
	s_mov_b32 s24, s6
	s_mov_b32 s25, s1
	v_fmac_f64_e32 v[20:21], s[16:17], v[86:87]
	v_fmac_f64_e32 v[164:165], s[18:19], v[90:91]
	;; [unrolled: 1-line block ×5, first 2 shown]
	v_fmac_f64_e32 v[164:165], -0.5, v[100:101]
	v_add_f64 v[146:147], v[18:19], v[178:179]
	v_fmac_f64_e32 v[164:165], s[14:15], v[88:89]
	v_fmac_f64_e32 v[20:21], s[12:13], v[96:97]
	v_pk_mov_b32 v[82:83], v[146:147], v[146:147] op_sel:[0,1]
	v_add_f64 v[140:141], v[164:165], -v[20:21]
	v_fmac_f64_e32 v[82:83], -2.0, v[18:19]
	v_mul_f64 v[18:19], v[102:103], s[20:21]
	v_pk_mov_b32 v[88:89], v[140:141], v[140:141] op_sel:[0,1]
	v_fmac_f64_e32 v[18:19], s[16:17], v[84:85]
	v_fmac_f64_e32 v[170:171], s[18:19], v[92:93]
	v_fmac_f64_e32 v[88:89], 2.0, v[20:21]
	v_add_f64 v[20:21], v[118:119], v[86:87]
	v_add_f64 v[22:23], v[112:113], v[110:111]
	v_fmac_f64_e32 v[18:19], s[24:25], v[108:109]
	v_fmac_f64_e32 v[170:171], -0.5, v[104:105]
	v_add_f64 v[20:21], v[20:21], -v[96:97]
	v_fmac_f64_e32 v[52:53], -0.5, v[22:23]
	v_fmac_f64_e32 v[56:57], s[18:19], v[112:113]
	v_fmac_f64_e32 v[170:171], s[14:15], v[98:99]
	;; [unrolled: 1-line block ×4, first 2 shown]
	v_fmac_f64_e32 v[56:57], -0.5, v[100:101]
	v_add_f64 v[134:135], v[134:135], -v[142:143]
	v_add_f64 v[142:143], v[18:19], v[170:171]
	v_mul_f64 v[20:21], v[20:21], s[6:7]
	v_pk_mov_b32 v[100:101], v[52:53], v[52:53] op_sel:[0,1]
	v_fmac_f64_e32 v[56:57], s[14:15], v[90:91]
	v_pk_mov_b32 v[90:91], v[142:143], v[142:143] op_sel:[0,1]
	v_fmac_f64_e32 v[100:101], 2.0, v[20:21]
	v_mul_f64 v[20:21], v[138:139], s[22:23]
	v_fmac_f64_e32 v[90:91], -2.0, v[18:19]
	v_add_f64 v[18:19], v[102:103], v[84:85]
	v_add_f64 v[24:25], v[116:117], v[114:115]
	v_fmac_f64_e32 v[20:21], s[16:17], v[150:151]
	v_fmac_f64_e32 v[220:221], s[18:19], v[154:155]
	v_add_f64 v[18:19], v[18:19], -v[94:95]
	v_fmac_f64_e32 v[54:55], -0.5, v[24:25]
	v_fmac_f64_e32 v[20:21], s[6:7], v[166:167]
	v_fmac_f64_e32 v[220:221], -0.5, v[160:161]
	v_fmac_f64_e32 v[58:59], s[18:19], v[116:117]
	v_fmac_f64_e32 v[54:55], s[6:7], v[18:19]
	;; [unrolled: 1-line block ×5, first 2 shown]
	v_fmac_f64_e32 v[58:59], -0.5, v[104:105]
	v_mul_f64 v[18:19], v[18:19], s[6:7]
	v_pk_mov_b32 v[102:103], v[54:55], v[54:55] op_sel:[0,1]
	v_add_f64 v[104:105], v[220:221], -v[20:21]
	v_fmac_f64_e32 v[120:121], s[12:13], v[84:85]
	v_fmac_f64_e32 v[102:103], -2.0, v[18:19]
	v_mul_f64 v[18:19], v[136:137], s[22:23]
	v_pk_mov_b32 v[84:85], v[104:105], v[104:105] op_sel:[0,1]
	v_fmac_f64_e32 v[18:19], s[16:17], v[148:149]
	v_fmac_f64_e32 v[222:223], s[18:19], v[158:159]
	v_fmac_f64_e32 v[84:85], 2.0, v[20:21]
	v_mul_f64 v[20:21], v[194:195], s[20:21]
	v_fmac_f64_e32 v[18:19], s[6:7], v[168:169]
	v_fmac_f64_e32 v[222:223], -0.5, v[162:163]
	v_fmac_f64_e32 v[20:21], s[16:17], v[138:139]
	v_fmac_f64_e32 v[214:215], s[18:19], v[152:153]
	;; [unrolled: 1-line block ×5, first 2 shown]
	v_fmac_f64_e32 v[214:215], -0.5, v[160:161]
	v_fmac_f64_e32 v[128:129], s[6:7], v[106:107]
	v_add_f64 v[106:107], v[18:19], v[222:223]
	v_fmac_f64_e32 v[214:215], s[14:15], v[154:155]
	v_fmac_f64_e32 v[20:21], s[12:13], v[150:151]
	;; [unrolled: 1-line block ×3, first 2 shown]
	v_pk_mov_b32 v[86:87], v[106:107], v[106:107] op_sel:[0,1]
	v_add_f64 v[124:125], v[214:215], -v[20:21]
	v_fmac_f64_e32 v[86:87], -2.0, v[18:19]
	v_mul_f64 v[18:19], v[188:189], s[20:21]
	v_pk_mov_b32 v[96:97], v[124:125], v[124:125] op_sel:[0,1]
	v_fmac_f64_e32 v[18:19], s[16:17], v[136:137]
	v_fmac_f64_e32 v[218:219], s[18:19], v[156:157]
	v_fmac_f64_e32 v[96:97], 2.0, v[20:21]
	v_add_f64 v[20:21], v[194:195], v[138:139]
	v_add_f64 v[22:23], v[182:183], v[180:181]
	v_fmac_f64_e32 v[18:19], s[24:25], v[168:169]
	v_fmac_f64_e32 v[218:219], -0.5, v[162:163]
	v_add_f64 v[20:21], v[20:21], -v[150:151]
	v_fmac_f64_e32 v[60:61], -0.5, v[22:23]
	v_fmac_f64_e32 v[218:219], s[14:15], v[158:159]
	v_fmac_f64_e32 v[18:19], s[12:13], v[148:149]
	;; [unrolled: 1-line block ×3, first 2 shown]
	v_add_f64 v[126:127], v[18:19], v[218:219]
	v_mul_f64 v[20:21], v[20:21], s[6:7]
	v_pk_mov_b32 v[116:117], v[60:61], v[60:61] op_sel:[0,1]
	v_pk_mov_b32 v[98:99], v[126:127], v[126:127] op_sel:[0,1]
	v_fmac_f64_e32 v[116:117], 2.0, v[20:21]
	v_mul_f64 v[20:21], v[198:199], s[22:23]
	v_fmac_f64_e32 v[58:59], s[14:15], v[92:93]
	v_fmac_f64_e32 v[98:99], -2.0, v[18:19]
	v_add_f64 v[18:19], v[188:189], v[136:137]
	v_add_f64 v[24:25], v[190:191], v[184:185]
	v_fmac_f64_e32 v[20:21], s[16:17], v[202:203]
	v_fmac_f64_e32 v[0:1], s[18:19], v[206:207]
	v_add_f64 v[58:59], v[120:121], v[58:59]
	v_add_f64 v[18:19], v[18:19], -v[148:149]
	v_fmac_f64_e32 v[62:63], -0.5, v[24:25]
	v_fmac_f64_e32 v[20:21], s[6:7], v[134:135]
	v_fmac_f64_e32 v[0:1], -0.5, v[212:213]
	v_pk_mov_b32 v[114:115], v[58:59], v[58:59] op_sel:[0,1]
	v_fmac_f64_e32 v[62:63], s[6:7], v[18:19]
	v_fmac_f64_e32 v[20:21], s[12:13], v[10:11]
	;; [unrolled: 1-line block ×3, first 2 shown]
	v_fmac_f64_e32 v[114:115], -2.0, v[120:121]
	v_mul_f64 v[18:19], v[18:19], s[6:7]
	v_pk_mov_b32 v[118:119], v[62:63], v[62:63] op_sel:[0,1]
	v_add_f64 v[120:121], v[0:1], -v[20:21]
	v_mul_f64 v[0:1], v[2:3], s[20:21]
	v_fmac_f64_e32 v[118:119], -2.0, v[18:19]
	v_mul_f64 v[18:19], v[196:197], s[22:23]
	v_fmac_f64_e32 v[0:1], s[16:17], v[196:197]
	v_fmac_f64_e32 v[16:17], s[18:19], v[208:209]
	;; [unrolled: 1-line block ×5, first 2 shown]
	v_fmac_f64_e32 v[16:17], -0.5, v[132:133]
	v_fmac_f64_e32 v[192:193], s[6:7], v[166:167]
	v_fmac_f64_e32 v[18:19], s[6:7], v[216:217]
	v_fmac_f64_e32 v[14:15], -0.5, v[132:133]
	v_fmac_f64_e32 v[16:17], s[14:15], v[210:211]
	v_fmac_f64_e32 v[0:1], s[12:13], v[200:201]
	;; [unrolled: 1-line block ×5, first 2 shown]
	v_add_f64 v[138:139], v[0:1], v[16:17]
	v_add_f64 v[122:123], v[18:19], v[14:15]
	v_mul_f64 v[14:15], v[10:11], s[20:21]
	v_pk_mov_b32 v[110:111], v[138:139], v[138:139] op_sel:[0,1]
	v_fmac_f64_e32 v[68:69], s[18:19], v[182:183]
	v_fmac_f64_e32 v[70:71], s[18:19], v[190:191]
	;; [unrolled: 1-line block ×5, first 2 shown]
	v_fmac_f64_e32 v[110:111], -2.0, v[0:1]
	v_add_f64 v[0:1], v[2:3], v[196:197]
	v_add_f64 v[2:3], v[10:11], v[198:199]
	;; [unrolled: 1-line block ×3, first 2 shown]
	v_fmac_f64_e32 v[186:187], s[6:7], v[168:169]
	v_fmac_f64_e32 v[68:69], -0.5, v[160:161]
	v_fmac_f64_e32 v[70:71], -0.5, v[162:163]
	v_fmac_f64_e32 v[50:51], s[18:19], v[12:13]
	v_fmac_f64_e32 v[14:15], s[24:25], v[134:135]
	v_fmac_f64_e32 v[8:9], -0.5, v[212:213]
	v_add_f64 v[2:3], v[2:3], -v[202:203]
	v_add_f64 v[6:7], v[12:13], v[6:7]
	v_fmac_f64_e32 v[72:73], -0.5, v[4:5]
	v_add_f64 v[56:57], v[56:57], -v[128:129]
	v_fmac_f64_e32 v[186:187], s[12:13], v[136:137]
	v_fmac_f64_e32 v[68:69], s[14:15], v[152:153]
	;; [unrolled: 1-line block ×5, first 2 shown]
	v_fmac_f64_e32 v[48:49], -0.5, v[212:213]
	v_fmac_f64_e32 v[50:51], -0.5, v[132:133]
	v_fmac_f64_e32 v[8:9], s[14:15], v[206:207]
	v_fmac_f64_e32 v[14:15], s[12:13], v[202:203]
	v_add_f64 v[0:1], v[0:1], -v[200:201]
	v_fmac_f64_e32 v[74:75], -0.5, v[6:7]
	v_fmac_f64_e32 v[72:73], s[24:25], v[2:3]
	v_add_f64 v[68:69], v[68:69], -v[192:193]
	v_add_f64 v[70:71], v[186:187], v[70:71]
	v_fmac_f64_e32 v[172:173], s[12:13], v[196:197]
	v_fmac_f64_e32 v[174:175], s[12:13], v[198:199]
	;; [unrolled: 1-line block ×4, first 2 shown]
	v_pk_mov_b32 v[112:113], v[56:57], v[56:57] op_sel:[0,1]
	v_add_f64 v[136:137], v[8:9], -v[14:15]
	v_mul_f64 v[4:5], v[2:3], s[6:7]
	v_pk_mov_b32 v[132:133], v[72:73], v[72:73] op_sel:[0,1]
	v_fmac_f64_e32 v[74:75], s[6:7], v[0:1]
	v_add_f64 v[48:49], v[48:49], -v[174:175]
	v_add_f64 v[50:51], v[172:173], v[50:51]
	v_fmac_f64_e32 v[112:113], 2.0, v[128:129]
	v_pk_mov_b32 v[128:129], v[68:69], v[68:69] op_sel:[0,1]
	v_pk_mov_b32 v[130:131], v[70:71], v[70:71] op_sel:[0,1]
	;; [unrolled: 1-line block ×5, first 2 shown]
	v_fmac_f64_e32 v[132:133], 2.0, v[4:5]
	v_mul_f64 v[0:1], v[0:1], s[6:7]
	v_pk_mov_b32 v[134:135], v[74:75], v[74:75] op_sel:[0,1]
	v_accvgpr_read_b32 v2, a218
	v_fmac_f64_e32 v[128:129], 2.0, v[192:193]
	v_fmac_f64_e32 v[130:131], -2.0, v[186:187]
	v_fmac_f64_e32 v[92:93], 2.0, v[20:21]
	v_fmac_f64_e32 v[94:95], -2.0, v[18:19]
	;; [unrolled: 2-line block ×3, first 2 shown]
	ds_write_b128 v236, v[144:147] offset:816
	v_pk_mov_b32 v[144:145], v[48:49], v[48:49] op_sel:[0,1]
	v_pk_mov_b32 v[146:147], v[50:51], v[50:51] op_sel:[0,1]
	v_accvgpr_read_b32 v4, a220
	v_accvgpr_read_b32 v5, a221
	v_fmac_f64_e32 v[144:145], 2.0, v[174:175]
	v_fmac_f64_e32 v[146:147], -2.0, v[172:173]
	ds_write_b128 v236, v[140:143] offset:1632
	ds_write_b128 v236, v[52:55] offset:2448
	;; [unrolled: 1-line block ×25, first 2 shown]
	s_waitcnt lgkmcnt(0)
	; wave barrier
	s_waitcnt lgkmcnt(0)
	ds_read_b128 v[84:87], v236 offset:7344
	ds_read_b128 v[48:51], v236
	ds_read_b128 v[52:55], v236 offset:816
	ds_read_b128 v[88:91], v236 offset:14688
	;; [unrolled: 1-line block ×22, first 2 shown]
	v_accvgpr_read_b32 v3, a219
	s_waitcnt lgkmcnt(14)
	v_mul_f64 v[6:7], v[4:5], v[86:87]
	v_mul_f64 v[0:1], v[4:5], v[84:85]
	v_fmac_f64_e32 v[6:7], v[2:3], v[84:85]
	v_fma_f64 v[8:9], v[2:3], v[86:87], -v[0:1]
	v_accvgpr_read_b32 v2, a214
	v_accvgpr_read_b32 v4, a216
	v_accvgpr_read_b32 v5, a217
	v_accvgpr_read_b32 v3, a215
	v_mul_f64 v[10:11], v[4:5], v[90:91]
	v_mul_f64 v[0:1], v[4:5], v[88:89]
	v_fmac_f64_e32 v[10:11], v[2:3], v[88:89]
	v_fma_f64 v[12:13], v[2:3], v[90:91], -v[0:1]
	v_accvgpr_read_b32 v2, a226
	v_accvgpr_read_b32 v4, a228
	v_accvgpr_read_b32 v5, a229
	v_accvgpr_read_b32 v3, a227
	;; [unrolled: 8-line block ×6, first 2 shown]
	s_waitcnt lgkmcnt(12)
	v_mul_f64 v[102:103], v[4:5], v[114:115]
	v_mul_f64 v[0:1], v[4:5], v[112:113]
	v_fmac_f64_e32 v[102:103], v[2:3], v[112:113]
	v_fma_f64 v[104:105], v[2:3], v[114:115], -v[0:1]
	v_accvgpr_read_b32 v2, a242
	v_accvgpr_read_b32 v4, a244
	;; [unrolled: 1-line block ×4, first 2 shown]
	v_mul_f64 v[106:107], v[4:5], v[110:111]
	v_mul_f64 v[0:1], v[4:5], v[108:109]
	v_fmac_f64_e32 v[106:107], v[2:3], v[108:109]
	v_fma_f64 v[108:109], v[2:3], v[110:111], -v[0:1]
	v_accvgpr_read_b32 v2, a246
	v_accvgpr_read_b32 v4, a248
	v_accvgpr_read_b32 v5, a249
	v_accvgpr_read_b32 v3, a247
	s_waitcnt lgkmcnt(11)
	v_mul_f64 v[110:111], v[4:5], v[118:119]
	v_mul_f64 v[0:1], v[4:5], v[116:117]
	v_fmac_f64_e32 v[110:111], v[2:3], v[116:117]
	v_fma_f64 v[112:113], v[2:3], v[118:119], -v[0:1]
	v_accvgpr_read_b32 v2, a250
	v_accvgpr_read_b32 v4, a252
	v_accvgpr_read_b32 v5, a253
	v_accvgpr_read_b32 v3, a251
	s_waitcnt lgkmcnt(8)
	;; [unrolled: 9-line block ×3, first 2 shown]
	v_mul_f64 v[118:119], v[4:5], v[130:131]
	v_mul_f64 v[0:1], v[4:5], v[128:129]
	v_fmac_f64_e32 v[118:119], v[2:3], v[128:129]
	v_fma_f64 v[120:121], v[2:3], v[130:131], -v[0:1]
	v_accvgpr_read_b32 v2, a176
	v_accvgpr_read_b32 v4, a178
	;; [unrolled: 1-line block ×4, first 2 shown]
	v_mul_f64 v[122:123], v[4:5], v[126:127]
	v_mul_f64 v[0:1], v[4:5], v[124:125]
	v_fmac_f64_e32 v[122:123], v[2:3], v[124:125]
	v_fma_f64 v[124:125], v[2:3], v[126:127], -v[0:1]
	v_accvgpr_read_b32 v2, a22
	v_accvgpr_read_b32 v4, a24
	;; [unrolled: 1-line block ×3, first 2 shown]
	ds_read_b128 v[84:87], v236 offset:13056
	ds_read_b128 v[88:91], v236 offset:13872
	v_accvgpr_read_b32 v3, a23
	s_waitcnt lgkmcnt(7)
	v_mul_f64 v[126:127], v[4:5], v[134:135]
	v_mul_f64 v[0:1], v[4:5], v[132:133]
	v_fmac_f64_e32 v[126:127], v[2:3], v[132:133]
	v_fma_f64 v[128:129], v[2:3], v[134:135], -v[0:1]
	v_accvgpr_read_b32 v2, a34
	ds_read_b128 v[96:99], v236 offset:21216
	v_accvgpr_read_b32 v4, a36
	v_accvgpr_read_b32 v5, a37
	;; [unrolled: 1-line block ×3, first 2 shown]
	s_waitcnt lgkmcnt(5)
	v_mul_f64 v[0:1], v[4:5], v[136:137]
	v_mul_f64 v[130:131], v[4:5], v[138:139]
	v_fma_f64 v[132:133], v[2:3], v[138:139], -v[0:1]
	s_waitcnt lgkmcnt(2)
	v_mul_f64 v[0:1], v[38:39], v[84:85]
	v_fmac_f64_e32 v[130:131], v[2:3], v[136:137]
	v_fma_f64 v[136:137], v[36:37], v[86:87], -v[0:1]
	v_mul_f64 v[138:139], v[34:35], v[142:143]
	v_mul_f64 v[0:1], v[34:35], v[140:141]
	v_fmac_f64_e32 v[138:139], v[32:33], v[140:141]
	v_fma_f64 v[140:141], v[32:33], v[142:143], -v[0:1]
	s_waitcnt lgkmcnt(1)
	v_mul_f64 v[0:1], v[46:47], v[88:89]
	v_fma_f64 v[20:21], v[44:45], v[90:91], -v[0:1]
	s_waitcnt lgkmcnt(0)
	v_mul_f64 v[0:1], v[42:43], v[96:97]
	v_add_f64 v[2:3], v[6:7], v[10:11]
	v_fma_f64 v[22:23], v[40:41], v[98:99], -v[0:1]
	v_add_f64 v[0:1], v[48:49], v[6:7]
	v_fmac_f64_e32 v[48:49], -0.5, v[2:3]
	v_add_f64 v[2:3], v[8:9], -v[12:13]
	v_fma_f64 v[4:5], s[0:1], v[2:3], v[48:49]
	v_fmac_f64_e32 v[48:49], s[4:5], v[2:3]
	v_add_f64 v[2:3], v[50:51], v[8:9]
	v_add_f64 v[8:9], v[8:9], v[12:13]
	;; [unrolled: 1-line block ×3, first 2 shown]
	v_fmac_f64_e32 v[50:51], -0.5, v[8:9]
	v_add_f64 v[8:9], v[6:7], -v[10:11]
	v_add_f64 v[10:11], v[14:15], v[26:27]
	v_fma_f64 v[6:7], s[4:5], v[8:9], v[50:51]
	v_fmac_f64_e32 v[50:51], s[0:1], v[8:9]
	v_add_f64 v[8:9], v[52:53], v[14:15]
	v_fmac_f64_e32 v[52:53], -0.5, v[10:11]
	v_add_f64 v[10:11], v[24:25], -v[28:29]
	v_add_f64 v[2:3], v[2:3], v[12:13]
	v_fma_f64 v[12:13], s[0:1], v[10:11], v[52:53]
	v_fmac_f64_e32 v[52:53], s[4:5], v[10:11]
	v_add_f64 v[10:11], v[54:55], v[24:25]
	v_add_f64 v[24:25], v[24:25], v[28:29]
	;; [unrolled: 1-line block ×3, first 2 shown]
	v_fmac_f64_e32 v[54:55], -0.5, v[24:25]
	v_add_f64 v[24:25], v[14:15], -v[26:27]
	v_add_f64 v[26:27], v[30:31], v[94:95]
	v_fma_f64 v[14:15], s[4:5], v[24:25], v[54:55]
	v_fmac_f64_e32 v[54:55], s[0:1], v[24:25]
	v_add_f64 v[24:25], v[56:57], v[30:31]
	v_fmac_f64_e32 v[56:57], -0.5, v[26:27]
	v_add_f64 v[26:27], v[92:93], -v[100:101]
	v_add_f64 v[32:33], v[92:93], v[100:101]
	v_add_f64 v[10:11], v[10:11], v[28:29]
	v_fma_f64 v[28:29], s[0:1], v[26:27], v[56:57]
	v_fmac_f64_e32 v[56:57], s[4:5], v[26:27]
	v_add_f64 v[26:27], v[58:59], v[92:93]
	v_fmac_f64_e32 v[58:59], -0.5, v[32:33]
	v_add_f64 v[32:33], v[30:31], -v[94:95]
	v_add_f64 v[34:35], v[102:103], v[106:107]
	v_mul_f64 v[134:135], v[38:39], v[86:87]
	v_mul_f64 v[18:19], v[42:43], v[98:99]
	v_fma_f64 v[30:31], s[4:5], v[32:33], v[58:59]
	v_fmac_f64_e32 v[58:59], s[0:1], v[32:33]
	v_add_f64 v[32:33], v[60:61], v[102:103]
	v_fmac_f64_e32 v[60:61], -0.5, v[34:35]
	v_add_f64 v[34:35], v[104:105], -v[108:109]
	v_add_f64 v[38:39], v[104:105], v[108:109]
	v_fmac_f64_e32 v[134:135], v[36:37], v[84:85]
	v_fmac_f64_e32 v[18:19], v[40:41], v[96:97]
	v_fma_f64 v[36:37], s[0:1], v[34:35], v[60:61]
	v_fmac_f64_e32 v[60:61], s[4:5], v[34:35]
	v_add_f64 v[34:35], v[62:63], v[104:105]
	v_fmac_f64_e32 v[62:63], -0.5, v[38:39]
	v_add_f64 v[40:41], v[102:103], -v[106:107]
	v_add_f64 v[42:43], v[110:111], v[114:115]
	v_mul_f64 v[16:17], v[46:47], v[90:91]
	v_fma_f64 v[38:39], s[4:5], v[40:41], v[62:63]
	v_fmac_f64_e32 v[62:63], s[0:1], v[40:41]
	v_add_f64 v[40:41], v[64:65], v[110:111]
	v_fmac_f64_e32 v[64:65], -0.5, v[42:43]
	v_add_f64 v[42:43], v[112:113], -v[116:117]
	v_add_f64 v[46:47], v[112:113], v[116:117]
	v_fmac_f64_e32 v[16:17], v[44:45], v[88:89]
	v_fma_f64 v[44:45], s[0:1], v[42:43], v[64:65]
	v_fmac_f64_e32 v[64:65], s[4:5], v[42:43]
	v_add_f64 v[42:43], v[66:67], v[112:113]
	v_fmac_f64_e32 v[66:67], -0.5, v[46:47]
	v_add_f64 v[84:85], v[110:111], -v[114:115]
	v_add_f64 v[86:87], v[118:119], v[122:123]
	v_fma_f64 v[46:47], s[4:5], v[84:85], v[66:67]
	v_fmac_f64_e32 v[66:67], s[0:1], v[84:85]
	v_add_f64 v[84:85], v[68:69], v[118:119]
	v_fmac_f64_e32 v[68:69], -0.5, v[86:87]
	v_add_f64 v[86:87], v[120:121], -v[124:125]
	v_add_f64 v[90:91], v[120:121], v[124:125]
	v_add_f64 v[24:25], v[24:25], v[94:95]
	v_fma_f64 v[88:89], s[0:1], v[86:87], v[68:69]
	v_fmac_f64_e32 v[68:69], s[4:5], v[86:87]
	v_add_f64 v[86:87], v[70:71], v[120:121]
	v_fmac_f64_e32 v[70:71], -0.5, v[90:91]
	v_add_f64 v[92:93], v[118:119], -v[122:123]
	v_add_f64 v[94:95], v[126:127], v[130:131]
	v_fma_f64 v[90:91], s[4:5], v[92:93], v[70:71]
	v_fmac_f64_e32 v[70:71], s[0:1], v[92:93]
	v_add_f64 v[92:93], v[72:73], v[126:127]
	v_fmac_f64_e32 v[72:73], -0.5, v[94:95]
	v_add_f64 v[94:95], v[128:129], -v[132:133]
	v_add_f64 v[98:99], v[128:129], v[132:133]
	v_add_f64 v[26:27], v[26:27], v[100:101]
	v_fma_f64 v[96:97], s[0:1], v[94:95], v[72:73]
	v_fmac_f64_e32 v[72:73], s[4:5], v[94:95]
	v_add_f64 v[94:95], v[74:75], v[128:129]
	v_fmac_f64_e32 v[74:75], -0.5, v[98:99]
	v_add_f64 v[100:101], v[126:127], -v[130:131]
	v_add_f64 v[102:103], v[134:135], v[138:139]
	;; [unrolled: 7-line block ×4, first 2 shown]
	v_fma_f64 v[106:107], s[4:5], v[108:109], v[78:79]
	v_fmac_f64_e32 v[78:79], s[0:1], v[108:109]
	v_add_f64 v[108:109], v[80:81], v[16:17]
	v_fmac_f64_e32 v[80:81], -0.5, v[110:111]
	v_add_f64 v[110:111], v[20:21], -v[22:23]
	v_fma_f64 v[112:113], s[0:1], v[110:111], v[80:81]
	v_fmac_f64_e32 v[80:81], s[4:5], v[110:111]
	v_add_f64 v[110:111], v[82:83], v[20:21]
	v_add_f64 v[20:21], v[20:21], v[22:23]
	v_fmac_f64_e32 v[82:83], -0.5, v[20:21]
	v_add_f64 v[16:17], v[16:17], -v[18:19]
	v_add_f64 v[40:41], v[40:41], v[114:115]
	v_add_f64 v[42:43], v[42:43], v[116:117]
	;; [unrolled: 1-line block ×10, first 2 shown]
	v_fma_f64 v[114:115], s[4:5], v[16:17], v[82:83]
	v_fmac_f64_e32 v[82:83], s[0:1], v[16:17]
	ds_write_b128 v236, v[0:3]
	ds_write_b128 v236, v[4:7] offset:7344
	ds_write_b128 v236, v[48:51] offset:14688
	;; [unrolled: 1-line block ×26, first 2 shown]
	s_waitcnt lgkmcnt(0)
	; wave barrier
	s_waitcnt lgkmcnt(0)
	ds_read_b128 v[0:3], v236
	v_accvgpr_read_b32 v152, a4
	v_mad_u64_u32 v[148:149], s[6:7], s10, v152, 0
	v_mov_b32_e32 v150, v149
	v_accvgpr_read_b32 v13, a9
	v_mad_u64_u32 v[4:5], s[0:1], s11, v152, v[150:151]
	v_accvgpr_read_b32 v12, a8
	v_mov_b32_e32 v149, v4
	ds_read_b128 v[4:7], v236 offset:1296
	v_accvgpr_read_b32 v11, a7
	v_accvgpr_read_b32 v10, a6
	s_waitcnt lgkmcnt(1)
	v_mul_f64 v[8:9], v[12:13], v[2:3]
	v_fmac_f64_e32 v[8:9], v[10:11], v[0:1]
	s_mov_b32 s4, 0xdee863a6
	v_mul_f64 v[0:1], v[12:13], v[0:1]
	s_mov_b32 s5, 0x3f47cbf1
	v_fma_f64 v[0:1], v[10:11], v[2:3], -v[0:1]
	v_accvgpr_read_b32 v12, a2
	v_mul_f64 v[10:11], v[0:1], s[4:5]
	v_mad_u64_u32 v[0:1], s[0:1], s8, v12, 0
	v_mov_b32_e32 v2, v1
	v_mad_u64_u32 v[2:3], s[0:1], s9, v12, v[2:3]
	v_mov_b32_e32 v1, v2
	v_lshlrev_b64 v[2:3], 4, v[148:149]
	v_mov_b32_e32 v12, s3
	v_add_co_u32_e64 v2, s[0:1], s2, v2
	v_addc_co_u32_e64 v3, s[0:1], v12, v3, s[0:1]
	v_lshlrev_b64 v[0:1], 4, v[0:1]
	v_add_co_u32_e64 v12, s[0:1], v2, v0
	v_mul_f64 v[8:9], v[8:9], s[4:5]
	v_addc_co_u32_e64 v13, s[0:1], v3, v1, s[0:1]
	global_store_dwordx4 v[12:13], v[8:11], off
	s_mul_i32 s0, s9, 0x51
	v_accvgpr_read_b32 v8, a70
	v_accvgpr_read_b32 v10, a72
	;; [unrolled: 1-line block ×4, first 2 shown]
	s_waitcnt lgkmcnt(0)
	v_mul_f64 v[0:1], v[10:11], v[6:7]
	v_mul_f64 v[2:3], v[10:11], v[4:5]
	v_fmac_f64_e32 v[0:1], v[8:9], v[4:5]
	v_fma_f64 v[2:3], v[8:9], v[6:7], -v[2:3]
	s_mul_hi_u32 s1, s8, 0x51
	ds_read_b128 v[4:7], v236 offset:2592
	s_add_i32 s1, s1, s0
	s_mul_i32 s0, s8, 0x51
	s_lshl_b64 s[2:3], s[0:1], 4
	v_mov_b32_e32 v14, s3
	v_add_co_u32_e64 v12, s[0:1], s2, v12
	v_accvgpr_read_b32 v16, a66
	v_mul_f64 v[0:1], v[0:1], s[4:5]
	v_mul_f64 v[2:3], v[2:3], s[4:5]
	v_addc_co_u32_e64 v13, s[0:1], v13, v14, s[0:1]
	v_accvgpr_read_b32 v18, a68
	v_accvgpr_read_b32 v19, a69
	global_store_dwordx4 v[12:13], v[0:3], off
	ds_read_b128 v[0:3], v236 offset:3888
	v_accvgpr_read_b32 v17, a67
	s_waitcnt lgkmcnt(1)
	v_mul_f64 v[8:9], v[18:19], v[6:7]
	v_fmac_f64_e32 v[8:9], v[16:17], v[4:5]
	v_mul_f64 v[4:5], v[18:19], v[4:5]
	v_fma_f64 v[4:5], v[16:17], v[6:7], -v[4:5]
	v_add_co_u32_e64 v12, s[0:1], s2, v12
	v_mul_f64 v[8:9], v[8:9], s[4:5]
	v_mul_f64 v[10:11], v[4:5], s[4:5]
	v_addc_co_u32_e64 v13, s[0:1], v13, v14, s[0:1]
	global_store_dwordx4 v[12:13], v[8:11], off
	v_accvgpr_read_b32 v6, a62
	v_accvgpr_read_b32 v8, a64
	;; [unrolled: 1-line block ×4, first 2 shown]
	s_waitcnt lgkmcnt(0)
	v_mul_f64 v[4:5], v[8:9], v[2:3]
	v_fmac_f64_e32 v[4:5], v[6:7], v[0:1]
	v_mul_f64 v[0:1], v[8:9], v[0:1]
	v_fma_f64 v[0:1], v[6:7], v[2:3], -v[0:1]
	v_mul_f64 v[6:7], v[0:1], s[4:5]
	ds_read_b128 v[0:3], v236 offset:5184
	v_add_co_u32_e64 v12, s[0:1], s2, v12
	v_accvgpr_read_b32 v16, a58
	v_mul_f64 v[4:5], v[4:5], s[4:5]
	v_addc_co_u32_e64 v13, s[0:1], v13, v14, s[0:1]
	v_accvgpr_read_b32 v18, a60
	v_accvgpr_read_b32 v19, a61
	global_store_dwordx4 v[12:13], v[4:7], off
	ds_read_b128 v[4:7], v236 offset:6480
	v_accvgpr_read_b32 v17, a59
	s_waitcnt lgkmcnt(1)
	v_mul_f64 v[8:9], v[18:19], v[2:3]
	v_fmac_f64_e32 v[8:9], v[16:17], v[0:1]
	v_mul_f64 v[0:1], v[18:19], v[0:1]
	v_fma_f64 v[0:1], v[16:17], v[2:3], -v[0:1]
	v_add_co_u32_e64 v12, s[0:1], s2, v12
	v_mul_f64 v[8:9], v[8:9], s[4:5]
	v_mul_f64 v[10:11], v[0:1], s[4:5]
	v_addc_co_u32_e64 v13, s[0:1], v13, v14, s[0:1]
	global_store_dwordx4 v[12:13], v[8:11], off
	v_add_co_u32_e64 v12, s[0:1], s2, v12
	v_accvgpr_read_b32 v8, a46
	v_accvgpr_read_b32 v10, a48
	;; [unrolled: 1-line block ×4, first 2 shown]
	s_waitcnt lgkmcnt(0)
	v_mul_f64 v[0:1], v[10:11], v[6:7]
	v_mul_f64 v[2:3], v[10:11], v[4:5]
	v_fmac_f64_e32 v[0:1], v[8:9], v[4:5]
	v_fma_f64 v[2:3], v[8:9], v[6:7], -v[2:3]
	ds_read_b128 v[4:7], v236 offset:7776
	v_accvgpr_read_b32 v19, a13
	v_mul_f64 v[0:1], v[0:1], s[4:5]
	v_mul_f64 v[2:3], v[2:3], s[4:5]
	v_addc_co_u32_e64 v13, s[0:1], v13, v14, s[0:1]
	v_accvgpr_read_b32 v18, a12
	global_store_dwordx4 v[12:13], v[0:3], off
	ds_read_b128 v[0:3], v236 offset:9072
	v_accvgpr_read_b32 v17, a11
	v_accvgpr_read_b32 v16, a10
	s_waitcnt lgkmcnt(1)
	v_mul_f64 v[8:9], v[18:19], v[6:7]
	v_fmac_f64_e32 v[8:9], v[16:17], v[4:5]
	v_mul_f64 v[4:5], v[18:19], v[4:5]
	v_fma_f64 v[4:5], v[16:17], v[6:7], -v[4:5]
	v_add_co_u32_e64 v12, s[0:1], s2, v12
	v_mul_f64 v[8:9], v[8:9], s[4:5]
	v_mul_f64 v[10:11], v[4:5], s[4:5]
	v_addc_co_u32_e64 v13, s[0:1], v13, v14, s[0:1]
	global_store_dwordx4 v[12:13], v[8:11], off
	v_accvgpr_read_b32 v6, a50
	v_accvgpr_read_b32 v8, a52
	;; [unrolled: 1-line block ×4, first 2 shown]
	s_waitcnt lgkmcnt(0)
	v_mul_f64 v[4:5], v[8:9], v[2:3]
	v_fmac_f64_e32 v[4:5], v[6:7], v[0:1]
	v_mul_f64 v[0:1], v[8:9], v[0:1]
	v_fma_f64 v[0:1], v[6:7], v[2:3], -v[0:1]
	v_mul_f64 v[6:7], v[0:1], s[4:5]
	ds_read_b128 v[0:3], v236 offset:10368
	v_add_co_u32_e64 v12, s[0:1], s2, v12
	v_accvgpr_read_b32 v19, a17
	v_mul_f64 v[4:5], v[4:5], s[4:5]
	v_addc_co_u32_e64 v13, s[0:1], v13, v14, s[0:1]
	v_accvgpr_read_b32 v18, a16
	global_store_dwordx4 v[12:13], v[4:7], off
	ds_read_b128 v[4:7], v236 offset:11664
	v_accvgpr_read_b32 v17, a15
	v_accvgpr_read_b32 v16, a14
	s_waitcnt lgkmcnt(1)
	v_mul_f64 v[8:9], v[18:19], v[2:3]
	v_fmac_f64_e32 v[8:9], v[16:17], v[0:1]
	v_mul_f64 v[0:1], v[18:19], v[0:1]
	v_fma_f64 v[0:1], v[16:17], v[2:3], -v[0:1]
	v_add_co_u32_e64 v12, s[0:1], s2, v12
	v_mul_f64 v[8:9], v[8:9], s[4:5]
	v_mul_f64 v[10:11], v[0:1], s[4:5]
	v_addc_co_u32_e64 v13, s[0:1], v13, v14, s[0:1]
	global_store_dwordx4 v[12:13], v[8:11], off
	v_add_co_u32_e64 v12, s[0:1], s2, v12
	v_accvgpr_read_b32 v8, a26
	v_accvgpr_read_b32 v10, a28
	;; [unrolled: 1-line block ×4, first 2 shown]
	s_waitcnt lgkmcnt(0)
	v_mul_f64 v[0:1], v[10:11], v[6:7]
	v_mul_f64 v[2:3], v[10:11], v[4:5]
	v_fmac_f64_e32 v[0:1], v[8:9], v[4:5]
	v_fma_f64 v[2:3], v[8:9], v[6:7], -v[2:3]
	ds_read_b128 v[4:7], v236 offset:12960
	v_accvgpr_read_b32 v16, a42
	v_mul_f64 v[0:1], v[0:1], s[4:5]
	v_mul_f64 v[2:3], v[2:3], s[4:5]
	v_addc_co_u32_e64 v13, s[0:1], v13, v14, s[0:1]
	v_accvgpr_read_b32 v18, a44
	v_accvgpr_read_b32 v19, a45
	global_store_dwordx4 v[12:13], v[0:3], off
	ds_read_b128 v[0:3], v236 offset:14256
	v_accvgpr_read_b32 v17, a43
	s_waitcnt lgkmcnt(1)
	v_mul_f64 v[8:9], v[18:19], v[6:7]
	v_fmac_f64_e32 v[8:9], v[16:17], v[4:5]
	v_mul_f64 v[4:5], v[18:19], v[4:5]
	v_fma_f64 v[4:5], v[16:17], v[6:7], -v[4:5]
	v_add_co_u32_e64 v12, s[0:1], s2, v12
	v_mul_f64 v[8:9], v[8:9], s[4:5]
	v_mul_f64 v[10:11], v[4:5], s[4:5]
	v_addc_co_u32_e64 v13, s[0:1], v13, v14, s[0:1]
	global_store_dwordx4 v[12:13], v[8:11], off
	buffer_load_dword v6, off, s[64:67], 0 offset:80 ; 4-byte Folded Reload
	s_nop 0
	buffer_load_dword v7, off, s[64:67], 0 offset:84 ; 4-byte Folded Reload
	buffer_load_dword v8, off, s[64:67], 0 offset:88 ; 4-byte Folded Reload
	;; [unrolled: 1-line block ×3, first 2 shown]
	v_add_co_u32_e64 v12, s[0:1], s2, v12
	v_addc_co_u32_e64 v13, s[0:1], v13, v14, s[0:1]
	s_waitcnt vmcnt(0) lgkmcnt(0)
	v_mul_f64 v[4:5], v[8:9], v[2:3]
	v_fmac_f64_e32 v[4:5], v[6:7], v[0:1]
	v_mul_f64 v[0:1], v[8:9], v[0:1]
	v_fma_f64 v[0:1], v[6:7], v[2:3], -v[0:1]
	v_mul_f64 v[4:5], v[4:5], s[4:5]
	v_mul_f64 v[6:7], v[0:1], s[4:5]
	global_store_dwordx4 v[12:13], v[4:7], off
	ds_read_b128 v[0:3], v236 offset:15552
	ds_read_b128 v[4:7], v236 offset:16848
	buffer_load_dword v16, off, s[64:67], 0 offset:64 ; 4-byte Folded Reload
	buffer_load_dword v17, off, s[64:67], 0 offset:68 ; 4-byte Folded Reload
	;; [unrolled: 1-line block ×4, first 2 shown]
	v_add_co_u32_e64 v12, s[0:1], s2, v12
	v_addc_co_u32_e64 v13, s[0:1], v13, v14, s[0:1]
	s_waitcnt vmcnt(0) lgkmcnt(1)
	v_mul_f64 v[8:9], v[18:19], v[2:3]
	v_fmac_f64_e32 v[8:9], v[16:17], v[0:1]
	v_mul_f64 v[0:1], v[18:19], v[0:1]
	v_fma_f64 v[0:1], v[16:17], v[2:3], -v[0:1]
	v_mul_f64 v[8:9], v[8:9], s[4:5]
	v_mul_f64 v[10:11], v[0:1], s[4:5]
	global_store_dwordx4 v[12:13], v[8:11], off
	buffer_load_dword v8, off, s[64:67], 0 offset:48 ; 4-byte Folded Reload
	s_nop 0
	buffer_load_dword v9, off, s[64:67], 0 offset:52 ; 4-byte Folded Reload
	buffer_load_dword v10, off, s[64:67], 0 offset:56 ; 4-byte Folded Reload
	;; [unrolled: 1-line block ×3, first 2 shown]
	v_add_co_u32_e64 v12, s[0:1], s2, v12
	v_addc_co_u32_e64 v13, s[0:1], v13, v14, s[0:1]
	s_waitcnt vmcnt(0) lgkmcnt(0)
	v_mul_f64 v[0:1], v[10:11], v[6:7]
	v_mul_f64 v[2:3], v[10:11], v[4:5]
	v_fmac_f64_e32 v[0:1], v[8:9], v[4:5]
	v_fma_f64 v[2:3], v[8:9], v[6:7], -v[2:3]
	v_mul_f64 v[0:1], v[0:1], s[4:5]
	v_mul_f64 v[2:3], v[2:3], s[4:5]
	global_store_dwordx4 v[12:13], v[0:3], off
	ds_read_b128 v[4:7], v236 offset:18144
	ds_read_b128 v[0:3], v236 offset:19440
	buffer_load_dword v16, off, s[64:67], 0 offset:32 ; 4-byte Folded Reload
	buffer_load_dword v17, off, s[64:67], 0 offset:36 ; 4-byte Folded Reload
	;; [unrolled: 1-line block ×4, first 2 shown]
	v_add_co_u32_e64 v12, s[0:1], s2, v12
	v_addc_co_u32_e64 v13, s[0:1], v13, v14, s[0:1]
	s_waitcnt vmcnt(0) lgkmcnt(1)
	v_mul_f64 v[8:9], v[18:19], v[6:7]
	v_fmac_f64_e32 v[8:9], v[16:17], v[4:5]
	v_mul_f64 v[4:5], v[18:19], v[4:5]
	v_fma_f64 v[4:5], v[16:17], v[6:7], -v[4:5]
	v_mul_f64 v[8:9], v[8:9], s[4:5]
	v_mul_f64 v[10:11], v[4:5], s[4:5]
	global_store_dwordx4 v[12:13], v[8:11], off
	buffer_load_dword v6, off, s[64:67], 0 offset:16 ; 4-byte Folded Reload
	s_nop 0
	buffer_load_dword v7, off, s[64:67], 0 offset:20 ; 4-byte Folded Reload
	buffer_load_dword v8, off, s[64:67], 0 offset:24 ; 4-byte Folded Reload
	;; [unrolled: 1-line block ×3, first 2 shown]
	s_waitcnt vmcnt(0) lgkmcnt(0)
	v_mul_f64 v[4:5], v[8:9], v[2:3]
	v_fmac_f64_e32 v[4:5], v[6:7], v[0:1]
	v_mul_f64 v[0:1], v[8:9], v[0:1]
	v_fma_f64 v[0:1], v[6:7], v[2:3], -v[0:1]
	v_add_co_u32_e64 v8, s[0:1], s2, v12
	v_mul_f64 v[4:5], v[4:5], s[4:5]
	v_mul_f64 v[6:7], v[0:1], s[4:5]
	v_addc_co_u32_e64 v9, s[0:1], v13, v14, s[0:1]
	global_store_dwordx4 v[8:9], v[4:7], off
	ds_read_b128 v[0:3], v236 offset:20736
	buffer_load_dword v10, off, s[64:67], 0 ; 4-byte Folded Reload
	buffer_load_dword v11, off, s[64:67], 0 offset:4 ; 4-byte Folded Reload
	buffer_load_dword v12, off, s[64:67], 0 offset:8 ; 4-byte Folded Reload
	;; [unrolled: 1-line block ×3, first 2 shown]
	s_waitcnt vmcnt(0) lgkmcnt(0)
	v_mul_f64 v[4:5], v[12:13], v[2:3]
	v_fmac_f64_e32 v[4:5], v[10:11], v[0:1]
	v_mul_f64 v[0:1], v[12:13], v[0:1]
	v_fma_f64 v[0:1], v[10:11], v[2:3], -v[0:1]
	v_mul_f64 v[6:7], v[0:1], s[4:5]
	v_add_co_u32_e64 v0, s[0:1], s2, v8
	v_mul_f64 v[4:5], v[4:5], s[4:5]
	v_addc_co_u32_e64 v1, s[0:1], v9, v14, s[0:1]
	global_store_dwordx4 v[0:1], v[4:7], off
	s_and_b64 exec, exec, vcc
	s_cbranch_execz .LBB0_15
; %bb.14:
	v_accvgpr_read_b32 v20, a33             ;  Reload Reuse
	v_accvgpr_read_b32 v21, a32             ;  Reload Reuse
	global_load_dwordx4 v[2:5], v[20:21], off offset:816
	ds_read_b128 v[6:9], v236 offset:816
	ds_read_b128 v[10:13], v236 offset:2112
	v_mov_b32_e32 v14, 0xffffb230
	s_mul_i32 s6, s9, 0xffffb230
	v_mad_u64_u32 v[14:15], s[0:1], s8, v14, v[0:1]
	s_sub_i32 s0, s6, s8
	v_add_u32_e32 v15, s0, v15
	s_movk_i32 s0, 0x1000
	s_waitcnt vmcnt(0) lgkmcnt(1)
	v_mul_f64 v[0:1], v[8:9], v[4:5]
	v_mul_f64 v[4:5], v[6:7], v[4:5]
	v_fmac_f64_e32 v[0:1], v[6:7], v[2:3]
	v_fma_f64 v[2:3], v[2:3], v[8:9], -v[4:5]
	v_mul_f64 v[0:1], v[0:1], s[4:5]
	v_mul_f64 v[2:3], v[2:3], s[4:5]
	global_store_dwordx4 v[14:15], v[0:3], off
	global_load_dwordx4 v[2:5], v[20:21], off offset:2112
	v_mov_b32_e32 v0, s3
	v_add_co_u32_e32 v14, vcc, s2, v14
	v_addc_co_u32_e32 v15, vcc, v15, v0, vcc
	v_add_co_u32_e32 v16, vcc, s0, v20
	v_addc_co_u32_e32 v17, vcc, 0, v21, vcc
	s_movk_i32 s0, 0x2000
	s_waitcnt vmcnt(0) lgkmcnt(0)
	v_mul_f64 v[6:7], v[12:13], v[4:5]
	v_mul_f64 v[4:5], v[10:11], v[4:5]
	v_fmac_f64_e32 v[6:7], v[10:11], v[2:3]
	v_fma_f64 v[4:5], v[2:3], v[12:13], -v[4:5]
	v_mul_f64 v[2:3], v[6:7], s[4:5]
	v_mul_f64 v[4:5], v[4:5], s[4:5]
	global_store_dwordx4 v[14:15], v[2:5], off
	global_load_dwordx4 v[2:5], v[20:21], off offset:3408
	ds_read_b128 v[6:9], v236 offset:3408
	ds_read_b128 v[10:13], v236 offset:4704
	v_add_co_u32_e32 v14, vcc, s2, v14
	v_addc_co_u32_e32 v15, vcc, v15, v0, vcc
	s_waitcnt vmcnt(0) lgkmcnt(1)
	v_mul_f64 v[18:19], v[8:9], v[4:5]
	v_mul_f64 v[4:5], v[6:7], v[4:5]
	v_fmac_f64_e32 v[18:19], v[6:7], v[2:3]
	v_fma_f64 v[4:5], v[2:3], v[8:9], -v[4:5]
	v_mul_f64 v[2:3], v[18:19], s[4:5]
	v_mul_f64 v[4:5], v[4:5], s[4:5]
	global_store_dwordx4 v[14:15], v[2:5], off
	global_load_dwordx4 v[2:5], v[16:17], off offset:608
	v_add_co_u32_e32 v14, vcc, s2, v14
	v_addc_co_u32_e32 v15, vcc, v15, v0, vcc
	s_waitcnt vmcnt(0) lgkmcnt(0)
	v_mul_f64 v[6:7], v[12:13], v[4:5]
	v_mul_f64 v[4:5], v[10:11], v[4:5]
	v_fmac_f64_e32 v[6:7], v[10:11], v[2:3]
	v_fma_f64 v[4:5], v[2:3], v[12:13], -v[4:5]
	v_mul_f64 v[2:3], v[6:7], s[4:5]
	v_mul_f64 v[4:5], v[4:5], s[4:5]
	global_store_dwordx4 v[14:15], v[2:5], off
	global_load_dwordx4 v[2:5], v[16:17], off offset:1904
	ds_read_b128 v[6:9], v236 offset:6000
	ds_read_b128 v[10:13], v236 offset:7296
	v_add_co_u32_e32 v14, vcc, s2, v14
	v_addc_co_u32_e32 v15, vcc, v15, v0, vcc
	s_waitcnt vmcnt(0) lgkmcnt(1)
	v_mul_f64 v[18:19], v[8:9], v[4:5]
	v_mul_f64 v[4:5], v[6:7], v[4:5]
	v_fmac_f64_e32 v[18:19], v[6:7], v[2:3]
	v_fma_f64 v[4:5], v[2:3], v[8:9], -v[4:5]
	v_mul_f64 v[2:3], v[18:19], s[4:5]
	v_mul_f64 v[4:5], v[4:5], s[4:5]
	global_store_dwordx4 v[14:15], v[2:5], off
	global_load_dwordx4 v[2:5], v[16:17], off offset:3200
	v_add_co_u32_e32 v16, vcc, s0, v20
	v_addc_co_u32_e32 v17, vcc, 0, v21, vcc
	v_add_co_u32_e32 v14, vcc, s2, v14
	v_addc_co_u32_e32 v15, vcc, v15, v0, vcc
	s_movk_i32 s0, 0x3000
	s_waitcnt vmcnt(0) lgkmcnt(0)
	v_mul_f64 v[6:7], v[12:13], v[4:5]
	v_mul_f64 v[4:5], v[10:11], v[4:5]
	v_fmac_f64_e32 v[6:7], v[10:11], v[2:3]
	v_fma_f64 v[4:5], v[2:3], v[12:13], -v[4:5]
	v_mul_f64 v[2:3], v[6:7], s[4:5]
	v_mul_f64 v[4:5], v[4:5], s[4:5]
	global_store_dwordx4 v[14:15], v[2:5], off
	global_load_dwordx4 v[2:5], v[16:17], off offset:400
	ds_read_b128 v[6:9], v236 offset:8592
	ds_read_b128 v[10:13], v236 offset:9888
	v_add_co_u32_e32 v14, vcc, s2, v14
	v_addc_co_u32_e32 v15, vcc, v15, v0, vcc
	s_waitcnt vmcnt(0) lgkmcnt(1)
	v_mul_f64 v[18:19], v[8:9], v[4:5]
	v_mul_f64 v[4:5], v[6:7], v[4:5]
	v_fmac_f64_e32 v[18:19], v[6:7], v[2:3]
	v_fma_f64 v[4:5], v[2:3], v[8:9], -v[4:5]
	v_mul_f64 v[2:3], v[18:19], s[4:5]
	v_mul_f64 v[4:5], v[4:5], s[4:5]
	global_store_dwordx4 v[14:15], v[2:5], off
	global_load_dwordx4 v[2:5], v[16:17], off offset:1696
	v_add_co_u32_e32 v14, vcc, s2, v14
	v_addc_co_u32_e32 v15, vcc, v15, v0, vcc
	s_waitcnt vmcnt(0) lgkmcnt(0)
	v_mul_f64 v[6:7], v[12:13], v[4:5]
	v_mul_f64 v[4:5], v[10:11], v[4:5]
	v_fmac_f64_e32 v[6:7], v[10:11], v[2:3]
	v_fma_f64 v[4:5], v[2:3], v[12:13], -v[4:5]
	v_mul_f64 v[2:3], v[6:7], s[4:5]
	v_mul_f64 v[4:5], v[4:5], s[4:5]
	global_store_dwordx4 v[14:15], v[2:5], off
	global_load_dwordx4 v[2:5], v[16:17], off offset:2992
	ds_read_b128 v[6:9], v236 offset:11184
	ds_read_b128 v[10:13], v236 offset:12480
	v_add_co_u32_e32 v16, vcc, s0, v20
	v_addc_co_u32_e32 v17, vcc, 0, v21, vcc
	v_add_co_u32_e32 v14, vcc, s2, v14
	v_addc_co_u32_e32 v15, vcc, v15, v0, vcc
	s_movk_i32 s0, 0x4000
	s_waitcnt vmcnt(0) lgkmcnt(1)
	v_mul_f64 v[18:19], v[8:9], v[4:5]
	v_mul_f64 v[4:5], v[6:7], v[4:5]
	v_fmac_f64_e32 v[18:19], v[6:7], v[2:3]
	v_fma_f64 v[4:5], v[2:3], v[8:9], -v[4:5]
	v_mul_f64 v[2:3], v[18:19], s[4:5]
	v_mul_f64 v[4:5], v[4:5], s[4:5]
	global_store_dwordx4 v[14:15], v[2:5], off
	global_load_dwordx4 v[2:5], v[16:17], off offset:192
	v_add_co_u32_e32 v14, vcc, s2, v14
	v_addc_co_u32_e32 v15, vcc, v15, v0, vcc
	s_waitcnt vmcnt(0) lgkmcnt(0)
	v_mul_f64 v[6:7], v[12:13], v[4:5]
	v_mul_f64 v[4:5], v[10:11], v[4:5]
	v_fmac_f64_e32 v[6:7], v[10:11], v[2:3]
	v_fma_f64 v[4:5], v[2:3], v[12:13], -v[4:5]
	v_mul_f64 v[2:3], v[6:7], s[4:5]
	v_mul_f64 v[4:5], v[4:5], s[4:5]
	global_store_dwordx4 v[14:15], v[2:5], off
	global_load_dwordx4 v[2:5], v[16:17], off offset:1488
	ds_read_b128 v[6:9], v236 offset:13776
	ds_read_b128 v[10:13], v236 offset:15072
	v_add_co_u32_e32 v14, vcc, s2, v14
	v_addc_co_u32_e32 v15, vcc, v15, v0, vcc
	s_waitcnt vmcnt(0) lgkmcnt(1)
	v_mul_f64 v[18:19], v[8:9], v[4:5]
	v_mul_f64 v[4:5], v[6:7], v[4:5]
	v_fmac_f64_e32 v[18:19], v[6:7], v[2:3]
	v_fma_f64 v[4:5], v[2:3], v[8:9], -v[4:5]
	v_mul_f64 v[2:3], v[18:19], s[4:5]
	v_mul_f64 v[4:5], v[4:5], s[4:5]
	global_store_dwordx4 v[14:15], v[2:5], off
	global_load_dwordx4 v[2:5], v[16:17], off offset:2784
	v_add_co_u32_e32 v14, vcc, s2, v14
	v_addc_co_u32_e32 v15, vcc, v15, v0, vcc
	s_waitcnt vmcnt(0) lgkmcnt(0)
	v_mul_f64 v[6:7], v[12:13], v[4:5]
	v_mul_f64 v[4:5], v[10:11], v[4:5]
	v_fmac_f64_e32 v[6:7], v[10:11], v[2:3]
	v_fma_f64 v[4:5], v[2:3], v[12:13], -v[4:5]
	v_mul_f64 v[2:3], v[6:7], s[4:5]
	v_mul_f64 v[4:5], v[4:5], s[4:5]
	global_store_dwordx4 v[14:15], v[2:5], off
	global_load_dwordx4 v[2:5], v[16:17], off offset:4080
	ds_read_b128 v[6:9], v236 offset:16368
	ds_read_b128 v[10:13], v236 offset:17664
	v_add_co_u32_e32 v16, vcc, s0, v20
	v_addc_co_u32_e32 v17, vcc, 0, v21, vcc
	v_add_co_u32_e32 v14, vcc, s2, v14
	v_addc_co_u32_e32 v15, vcc, v15, v0, vcc
	s_movk_i32 s0, 0x5000
	s_waitcnt vmcnt(0) lgkmcnt(1)
	v_mul_f64 v[18:19], v[8:9], v[4:5]
	v_mul_f64 v[4:5], v[6:7], v[4:5]
	v_fmac_f64_e32 v[18:19], v[6:7], v[2:3]
	v_fma_f64 v[4:5], v[2:3], v[8:9], -v[4:5]
	v_mul_f64 v[2:3], v[18:19], s[4:5]
	v_mul_f64 v[4:5], v[4:5], s[4:5]
	global_store_dwordx4 v[14:15], v[2:5], off
	global_load_dwordx4 v[2:5], v[16:17], off offset:1280
	v_add_co_u32_e32 v14, vcc, s2, v14
	v_addc_co_u32_e32 v15, vcc, v15, v0, vcc
	s_waitcnt vmcnt(0) lgkmcnt(0)
	v_mul_f64 v[6:7], v[12:13], v[4:5]
	v_mul_f64 v[4:5], v[10:11], v[4:5]
	v_fmac_f64_e32 v[6:7], v[10:11], v[2:3]
	v_fma_f64 v[4:5], v[2:3], v[12:13], -v[4:5]
	v_mul_f64 v[2:3], v[6:7], s[4:5]
	v_mul_f64 v[4:5], v[4:5], s[4:5]
	global_store_dwordx4 v[14:15], v[2:5], off
	global_load_dwordx4 v[2:5], v[16:17], off offset:2576
	ds_read_b128 v[6:9], v236 offset:18960
	ds_read_b128 v[10:13], v236 offset:20256
	v_add_co_u32_e32 v14, vcc, s2, v14
	v_addc_co_u32_e32 v15, vcc, v15, v0, vcc
	s_waitcnt vmcnt(0) lgkmcnt(1)
	v_mul_f64 v[18:19], v[8:9], v[4:5]
	v_mul_f64 v[4:5], v[6:7], v[4:5]
	v_fmac_f64_e32 v[18:19], v[6:7], v[2:3]
	v_fma_f64 v[4:5], v[2:3], v[8:9], -v[4:5]
	v_mul_f64 v[2:3], v[18:19], s[4:5]
	v_mul_f64 v[4:5], v[4:5], s[4:5]
	global_store_dwordx4 v[14:15], v[2:5], off
	global_load_dwordx4 v[2:5], v[16:17], off offset:3872
	v_add_co_u32_e32 v6, vcc, s0, v20
	v_addc_co_u32_e32 v7, vcc, 0, v21, vcc
	v_add_co_u32_e32 v14, vcc, s2, v14
	v_addc_co_u32_e32 v15, vcc, v15, v0, vcc
	s_waitcnt vmcnt(0) lgkmcnt(0)
	v_mul_f64 v[8:9], v[12:13], v[4:5]
	v_mul_f64 v[4:5], v[10:11], v[4:5]
	v_fmac_f64_e32 v[8:9], v[10:11], v[2:3]
	v_fma_f64 v[4:5], v[2:3], v[12:13], -v[4:5]
	v_mul_f64 v[2:3], v[8:9], s[4:5]
	v_mul_f64 v[4:5], v[4:5], s[4:5]
	global_store_dwordx4 v[14:15], v[2:5], off
	global_load_dwordx4 v[2:5], v[6:7], off offset:1072
	ds_read_b128 v[6:9], v236 offset:21552
	s_waitcnt vmcnt(0) lgkmcnt(0)
	v_mul_f64 v[10:11], v[8:9], v[4:5]
	v_mul_f64 v[4:5], v[6:7], v[4:5]
	v_fmac_f64_e32 v[10:11], v[6:7], v[2:3]
	v_fma_f64 v[4:5], v[2:3], v[8:9], -v[4:5]
	v_add_co_u32_e32 v6, vcc, s2, v14
	v_mul_f64 v[2:3], v[10:11], s[4:5]
	v_mul_f64 v[4:5], v[4:5], s[4:5]
	v_addc_co_u32_e32 v7, vcc, v15, v0, vcc
	global_store_dwordx4 v[6:7], v[2:5], off
.LBB0_15:
	s_endpgm
	.section	.rodata,"a",@progbits
	.p2align	6, 0x0
	.amdhsa_kernel bluestein_single_back_len1377_dim1_dp_op_CI_CI
		.amdhsa_group_segment_fixed_size 22032
		.amdhsa_private_segment_fixed_size 104
		.amdhsa_kernarg_size 104
		.amdhsa_user_sgpr_count 6
		.amdhsa_user_sgpr_private_segment_buffer 1
		.amdhsa_user_sgpr_dispatch_ptr 0
		.amdhsa_user_sgpr_queue_ptr 0
		.amdhsa_user_sgpr_kernarg_segment_ptr 1
		.amdhsa_user_sgpr_dispatch_id 0
		.amdhsa_user_sgpr_flat_scratch_init 0
		.amdhsa_user_sgpr_kernarg_preload_length 0
		.amdhsa_user_sgpr_kernarg_preload_offset 0
		.amdhsa_user_sgpr_private_segment_size 0
		.amdhsa_uses_dynamic_stack 0
		.amdhsa_system_sgpr_private_segment_wavefront_offset 1
		.amdhsa_system_sgpr_workgroup_id_x 1
		.amdhsa_system_sgpr_workgroup_id_y 0
		.amdhsa_system_sgpr_workgroup_id_z 0
		.amdhsa_system_sgpr_workgroup_info 0
		.amdhsa_system_vgpr_workitem_id 0
		.amdhsa_next_free_vgpr 512
		.amdhsa_next_free_sgpr 68
		.amdhsa_accum_offset 256
		.amdhsa_reserve_vcc 1
		.amdhsa_reserve_flat_scratch 0
		.amdhsa_float_round_mode_32 0
		.amdhsa_float_round_mode_16_64 0
		.amdhsa_float_denorm_mode_32 3
		.amdhsa_float_denorm_mode_16_64 3
		.amdhsa_dx10_clamp 1
		.amdhsa_ieee_mode 1
		.amdhsa_fp16_overflow 0
		.amdhsa_tg_split 0
		.amdhsa_exception_fp_ieee_invalid_op 0
		.amdhsa_exception_fp_denorm_src 0
		.amdhsa_exception_fp_ieee_div_zero 0
		.amdhsa_exception_fp_ieee_overflow 0
		.amdhsa_exception_fp_ieee_underflow 0
		.amdhsa_exception_fp_ieee_inexact 0
		.amdhsa_exception_int_div_zero 0
	.end_amdhsa_kernel
	.text
.Lfunc_end0:
	.size	bluestein_single_back_len1377_dim1_dp_op_CI_CI, .Lfunc_end0-bluestein_single_back_len1377_dim1_dp_op_CI_CI
                                        ; -- End function
	.section	.AMDGPU.csdata,"",@progbits
; Kernel info:
; codeLenInByte = 55944
; NumSgprs: 72
; NumVgprs: 256
; NumAgprs: 256
; TotalNumVgprs: 512
; ScratchSize: 104
; MemoryBound: 0
; FloatMode: 240
; IeeeMode: 1
; LDSByteSize: 22032 bytes/workgroup (compile time only)
; SGPRBlocks: 8
; VGPRBlocks: 63
; NumSGPRsForWavesPerEU: 72
; NumVGPRsForWavesPerEU: 512
; AccumOffset: 256
; Occupancy: 1
; WaveLimiterHint : 1
; COMPUTE_PGM_RSRC2:SCRATCH_EN: 1
; COMPUTE_PGM_RSRC2:USER_SGPR: 6
; COMPUTE_PGM_RSRC2:TRAP_HANDLER: 0
; COMPUTE_PGM_RSRC2:TGID_X_EN: 1
; COMPUTE_PGM_RSRC2:TGID_Y_EN: 0
; COMPUTE_PGM_RSRC2:TGID_Z_EN: 0
; COMPUTE_PGM_RSRC2:TIDIG_COMP_CNT: 0
; COMPUTE_PGM_RSRC3_GFX90A:ACCUM_OFFSET: 63
; COMPUTE_PGM_RSRC3_GFX90A:TG_SPLIT: 0
	.text
	.p2alignl 6, 3212836864
	.fill 256, 4, 3212836864
	.type	__hip_cuid_34906fdd8262d965,@object ; @__hip_cuid_34906fdd8262d965
	.section	.bss,"aw",@nobits
	.globl	__hip_cuid_34906fdd8262d965
__hip_cuid_34906fdd8262d965:
	.byte	0                               ; 0x0
	.size	__hip_cuid_34906fdd8262d965, 1

	.ident	"AMD clang version 19.0.0git (https://github.com/RadeonOpenCompute/llvm-project roc-6.4.0 25133 c7fe45cf4b819c5991fe208aaa96edf142730f1d)"
	.section	".note.GNU-stack","",@progbits
	.addrsig
	.addrsig_sym __hip_cuid_34906fdd8262d965
	.amdgpu_metadata
---
amdhsa.kernels:
  - .agpr_count:     256
    .args:
      - .actual_access:  read_only
        .address_space:  global
        .offset:         0
        .size:           8
        .value_kind:     global_buffer
      - .actual_access:  read_only
        .address_space:  global
        .offset:         8
        .size:           8
        .value_kind:     global_buffer
      - .actual_access:  read_only
        .address_space:  global
        .offset:         16
        .size:           8
        .value_kind:     global_buffer
      - .actual_access:  read_only
        .address_space:  global
        .offset:         24
        .size:           8
        .value_kind:     global_buffer
      - .actual_access:  read_only
        .address_space:  global
        .offset:         32
        .size:           8
        .value_kind:     global_buffer
      - .offset:         40
        .size:           8
        .value_kind:     by_value
      - .address_space:  global
        .offset:         48
        .size:           8
        .value_kind:     global_buffer
      - .address_space:  global
        .offset:         56
        .size:           8
        .value_kind:     global_buffer
      - .address_space:  global
        .offset:         64
        .size:           8
        .value_kind:     global_buffer
      - .address_space:  global
        .offset:         72
        .size:           8
        .value_kind:     global_buffer
      - .offset:         80
        .size:           4
        .value_kind:     by_value
      - .address_space:  global
        .offset:         88
        .size:           8
        .value_kind:     global_buffer
      - .address_space:  global
        .offset:         96
        .size:           8
        .value_kind:     global_buffer
    .group_segment_fixed_size: 22032
    .kernarg_segment_align: 8
    .kernarg_segment_size: 104
    .language:       OpenCL C
    .language_version:
      - 2
      - 0
    .max_flat_workgroup_size: 51
    .name:           bluestein_single_back_len1377_dim1_dp_op_CI_CI
    .private_segment_fixed_size: 104
    .sgpr_count:     72
    .sgpr_spill_count: 0
    .symbol:         bluestein_single_back_len1377_dim1_dp_op_CI_CI.kd
    .uniform_work_group_size: 1
    .uses_dynamic_stack: false
    .vgpr_count:     512
    .vgpr_spill_count: 27
    .wavefront_size: 64
amdhsa.target:   amdgcn-amd-amdhsa--gfx90a
amdhsa.version:
  - 1
  - 2
...

	.end_amdgpu_metadata
